;; amdgpu-corpus repo=ROCm/aiter kind=harvested arch=n/a opt=n/a

/root/src/amdgpu-assembly/repos/ROCm__aiter/hsa/gfx942/pa/pa_bf16_perblockFp8_blk256_1tg_4w_qlen32_msk1_ps.co:	file format elf64-amdgpu

Disassembly of section .text:

0000000000002600 <_ZN5aiter44PA_A16W8_BLK256_1TG_4W_32mx1_64nx4_MTP_PS_PBE>:
	s_and_b32 s1, s1, 0xffff                                   // 000000002600: 8601FF01 0000FFFF
	s_load_dwordx2 s[4:5], s[0:1], 0x0                         // 000000002608: C0060100 00000000
	s_load_dwordx2 s[8:9], s[0:1], 0x10                        // 000000002610: C0060200 00000010
	s_load_dwordx2 s[12:13], s[0:1], 0x20                      // 000000002618: C0060300 00000020
	s_load_dwordx2 s[16:17], s[0:1], 0x30                      // 000000002620: C0060400 00000030
	s_load_dwordx2 s[42:43], s[0:1], 0x40                      // 000000002628: C0060A80 00000040
	s_load_dwordx2 s[40:41], s[0:1], 0x50                      // 000000002630: C0060A00 00000050
	s_load_dwordx2 s[20:21], s[0:1], 0x60                      // 000000002638: C0060500 00000060
	s_load_dwordx2 s[24:25], s[0:1], 0x70                      // 000000002640: C0060600 00000070
	s_load_dword s46, s[0:1], 0x80                             // 000000002648: C0020B80 00000080
	s_load_dword s48, s[0:1], 0x90                             // 000000002650: C0020C00 00000090
	s_load_dword s49, s[0:1], 0xa0                             // 000000002658: C0020C40 000000A0
	s_load_dword s50, s[0:1], 0xb0                             // 000000002660: C0020C80 000000B0
	s_load_dword s51, s[0:1], 0xc0                             // 000000002668: C0020CC0 000000C0
	s_load_dword s52, s[0:1], 0xd0                             // 000000002670: C0020D00 000000D0
	s_load_dword s53, s[0:1], 0xe0                             // 000000002678: C0020D40 000000E0
	s_load_dwordx2 s[44:45], s[0:1], 0x100                     // 000000002680: C0060B00 00000100
	s_load_dwordx2 s[36:37], s[0:1], 0x110                     // 000000002688: C0060900 00000110
	s_load_dwordx2 s[38:39], s[0:1], 0x120                     // 000000002690: C0060980 00000120
	s_load_dwordx2 s[28:29], s[0:1], 0x130                     // 000000002698: C0060700 00000130
	s_load_dwordx2 s[32:33], s[0:1], 0x140                     // 0000000026A0: C0060800 00000140
	v_lshrrev_b32_e32 v1, 10, v0                               // 0000000026A8: 2002008A
	v_lshrrev_b32_e32 v2, 10, v1                               // 0000000026AC: 2004028A
	v_and_b32_e32 v2, 0x3ff, v2                                // 0000000026B0: 260404FF 000003FF
	v_and_b32_e32 v1, 0x3ff, v1                                // 0000000026B8: 260202FF 000003FF
	v_and_b32_e32 v0, 0x3ff, v0                                // 0000000026C0: 260000FF 000003FF
	v_lshrrev_b32_e32 v3, 6, v0                                // 0000000026C8: 20060086
	v_and_b32_e32 v0, 63, v0                                   // 0000000026CC: 260000BF
	s_mov_b32 s58, s2                                          // 0000000026D0: BEBA0002
	v_readfirstlane_b32 s57, v3                                // 0000000026D4: 7E720503
	s_mov_b32 s56, 0x7060302                                   // 0000000026D8: BEB800FF 07060302
	v_mov_b32_e32 v191, 0xffff0000                             // 0000000026E0: 7F7E02FF FFFF0000
	v_mov_b32_e32 v192, 0x7fff0000                             // 0000000026E8: 7F8002FF 7FFF0000
	v_mov_b32_e32 v193, 0x7fff                                 // 0000000026F0: 7F8202FF 00007FFF
	v_mov_b32_e32 v197, 0xff800000                             // 0000000026F8: 7F8A02FF FF800000
	s_waitcnt lgkmcnt(0)                                       // 000000002700: BF8CC07F
	s_lshl_b32 s54, s58, 2                                     // 000000002704: 8E36823A
	s_and_b32 s37, s37, 0xffff                                 // 000000002708: 8625FF25 0000FFFF
	s_load_dwordx2 s[80:81], s[36:37], s54                     // 000000002710: C0041412 00000036
	s_mul_i32 s54, s53, 0x100                                  // 000000002718: 9236FF35 00000100
	s_mul_i32 s67, s48, s54                                    // 000000002720: 92433630
	s_mul_i32 s66, s48, 4                                      // 000000002724: 92428430
	s_mov_b32 s47, s46                                         // 000000002728: BEAF002E
	s_mov_b32 s10, 0x80000000                                  // 00000000272C: BE8A00FF 80000000
	s_mov_b32 s11, 0x20000                                     // 000000002734: BE8B00FF 00020000
	s_and_b32 s9, s9, 0xffff                                   // 00000000273C: 8609FF09 0000FFFF
	s_or_b32 s9, s9, 0                                         // 000000002744: 87098009
	s_mov_b32 s84, s8                                          // 000000002748: BED40008
	s_mov_b32 s85, s9                                          // 00000000274C: BED50009
	s_mov_b32 s6, 0x80000000                                   // 000000002750: BE8600FF 80000000
	s_mov_b32 s7, 0x20000                                      // 000000002758: BE8700FF 00020000
	s_and_b32 s5, s5, 0xffff                                   // 000000002760: 8605FF05 0000FFFF
	s_or_b32 s5, s5, 0                                         // 000000002768: 87058005
	s_mov_b32 s82, s4                                          // 00000000276C: BED20004
	s_mov_b32 s83, s5                                          // 000000002770: BED30005
	s_mov_b32 s30, 0x80000000                                  // 000000002774: BE9E00FF 80000000
	s_mov_b32 s31, 0x20000                                     // 00000000277C: BE9F00FF 00020000
	s_and_b32 s29, s29, 0xffff                                 // 000000002784: 861DFF1D 0000FFFF
	s_or_b32 s29, s29, 0                                       // 00000000278C: 871D801D
	s_mov_b32 s94, s28                                         // 000000002790: BEDE001C
	s_mov_b32 s95, s29                                         // 000000002794: BEDF001D
	s_mov_b32 s34, 0x80000000                                  // 000000002798: BEA200FF 80000000
	s_mov_b32 s35, 0x20000                                     // 0000000027A0: BEA300FF 00020000
	s_and_b32 s33, s33, 0xffff                                 // 0000000027A8: 8621FF21 0000FFFF
	s_or_b32 s33, s33, 0                                       // 0000000027B0: 87218021
	s_mov_b32 s96, s32                                         // 0000000027B4: BEE00020
	s_mov_b32 s97, s33                                         // 0000000027B8: BEE10021
	s_mov_b32 s14, 0x80000000                                  // 0000000027BC: BE8E00FF 80000000
	s_mov_b32 s15, 0x20000                                     // 0000000027C4: BE8F00FF 00020000
	s_and_b32 s13, s13, 0xffff                                 // 0000000027CC: 860DFF0D 0000FFFF
	s_or_b32 s13, s13, 0                                       // 0000000027D4: 870D800D
	s_mul_i32 s55, s57, 0x100                                  // 0000000027D8: 9237FF39 00000100
	s_add_u32 s86, s12, s55                                    // 0000000027E0: 8056370C
	s_addc_u32 s87, s13, 0                                     // 0000000027E4: 8257800D
	s_mov_b32 s18, 0x80000000                                  // 0000000027E8: BE9200FF 80000000
	s_mov_b32 s19, 0x20000                                     // 0000000027F0: BE9300FF 00020000
	s_and_b32 s17, s17, 0xffff                                 // 0000000027F8: 8611FF11 0000FFFF
	s_or_b32 s17, s17, 0                                       // 000000002800: 87118011
	s_add_u32 s88, s16, s55                                    // 000000002804: 80583710
	s_addc_u32 s89, s17, 0                                     // 000000002808: 82598011
	s_mov_b32 s22, 0x80000000                                  // 00000000280C: BE9600FF 80000000
	s_mov_b32 s23, 0x20000                                     // 000000002814: BE9700FF 00020000
	s_and_b32 s21, s21, 0xffff                                 // 00000000281C: 8615FF15 0000FFFF
	s_or_b32 s21, s21, 0                                       // 000000002824: 87158015
	s_add_u32 s90, s20, 0                                      // 000000002828: 805A8014
	s_addc_u32 s91, s21, 0                                     // 00000000282C: 825B8015
	s_mov_b32 s26, 0x80000000                                  // 000000002830: BE9A00FF 80000000
	s_mov_b32 s27, 0x20000                                     // 000000002838: BE9B00FF 00020000
	s_and_b32 s25, s25, 0xffff                                 // 000000002840: 8619FF19 0000FFFF
	s_or_b32 s25, s25, 0                                       // 000000002848: 87198019
	s_add_u32 s92, s24, 0                                      // 00000000284C: 805C8018
	s_addc_u32 s93, s25, 0                                     // 000000002850: 825D8019
	s_and_b32 s39, s39, 0xffff                                 // 000000002854: 8627FF27 0000FFFF
	s_and_b32 s41, s41, 0xffff                                 // 00000000285C: 8629FF29 0000FFFF
	s_and_b32 s43, s43, 0xffff                                 // 000000002864: 862BFF2B 0000FFFF
	s_and_b32 s45, s45, 0xffff                                 // 00000000286C: 862DFF2D 0000FFFF
	v_and_b32_e32 v162, 15, v0                                 // 000000002874: 2744008F
	v_lshlrev_b32_e32 v162, 4, v162                            // 000000002878: 25454484
	s_lshl_b32 s54, s57, 2                                     // 00000000287C: 8E368239
	v_lshrrev_b32_e32 v154, 4, v0                              // 000000002880: 21340084
	v_add_u32_e32 v154, s54, v154                              // 000000002884: 69353436
	v_add_u32_e32 v155, 16, v154                               // 000000002888: 69373490
	v_cvt_f32_u32_e32 v186, s53                                // 00000000288C: 7F740C35
	v_sub_i32 v158, 0, s53                                     // 000000002890: D29D009E 00006A80
	v_rcp_iflag_f32_e32 v186, v186                             // 000000002898: 7F7447BA
	s_nop 0                                                    // 00000000289C: BF800000
	v_mul_f32_e32 v186, 0x4f7ffffe, v186                       // 0000000028A0: 0B7574FF 4F7FFFFE
	v_cvt_u32_f32_e32 v186, v186                               // 0000000028A8: 7F740FBA
	v_mul_lo_u32 v187, v158, v186                              // 0000000028AC: D28500BB 0003759E
	v_mul_hi_u32 v187, v186, v187                              // 0000000028B4: D28600BB 000377BA
	v_add_u32_e32 v186, v186, v187                             // 0000000028BC: 697577BA
	v_mul_hi_u32 v186, v154, v186                              // 0000000028C0: D28600BA 0003759A
	v_mul_lo_u32 v187, v186, s53                               // 0000000028C8: D28500BB 00006BBA
	v_sub_u32_e32 v189, v154, v187                             // 0000000028D0: 6B7B779A
	v_add_u32_e32 v188, 1, v186                                // 0000000028D4: 69797481
	v_cmp_le_u32_e32 vcc, s53, v189                            // 0000000028D8: 7D977A35
	v_subrev_u32_e32 v187, s53, v189                           // 0000000028DC: 6D777A35
	s_nop 0                                                    // 0000000028E0: BF800000
	v_cndmask_b32_e32 v186, v186, v188, vcc                    // 0000000028E4: 017579BA
	v_cndmask_b32_e32 v189, v189, v187, vcc                    // 0000000028E8: 017B77BD
	v_add_u32_e32 v187, 1, v186                                // 0000000028EC: 69777481
	v_cmp_le_u32_e32 vcc, s53, v189                            // 0000000028F0: 7D977A35
	s_nop 1                                                    // 0000000028F4: BF800001
	v_cndmask_b32_e32 v158, v186, v187, vcc                    // 0000000028F8: 013D77BA
	v_mul_i32_i24_e32 v188, s53, v158                          // 0000000028FC: 0D793C35
	v_sub_u32_e32 v188, v154, v188                             // 000000002900: 6B79799A
	v_mul_u32_u24_e32 v188, 0x100, v188                        // 000000002904: 117978FF 00000100
	v_mul_u32_u24_e32 v198, s49, v158                          // 00000000290C: 118D3C31
	v_add3_u32 v198, v188, v198, v162                          // 000000002910: D1FF00C6 068B8DBC
	v_mul_u32_u24_e32 v200, s67, v158                          // 000000002918: 11913C43
	v_add3_u32 v200, v188, v200, v162                          // 00000000291C: D1FF00C8 068B91BC
	v_cvt_f32_u32_e32 v186, s53                                // 000000002924: 7F740C35
	v_sub_i32 v158, 0, s53                                     // 000000002928: D29D009E 00006A80
	v_rcp_iflag_f32_e32 v186, v186                             // 000000002930: 7F7447BA
	s_nop 0                                                    // 000000002934: BF800000
	v_mul_f32_e32 v186, 0x4f7ffffe, v186                       // 000000002938: 0B7574FF 4F7FFFFE
	v_cvt_u32_f32_e32 v186, v186                               // 000000002940: 7F740FBA
	v_mul_lo_u32 v187, v158, v186                              // 000000002944: D28500BB 0003759E
	v_mul_hi_u32 v187, v186, v187                              // 00000000294C: D28600BB 000377BA
	v_add_u32_e32 v186, v186, v187                             // 000000002954: 697577BA
	v_mul_hi_u32 v186, v155, v186                              // 000000002958: D28600BA 0003759B
	v_mul_lo_u32 v187, v186, s53                               // 000000002960: D28500BB 00006BBA
	v_sub_u32_e32 v189, v155, v187                             // 000000002968: 6B7B779B
	v_add_u32_e32 v188, 1, v186                                // 00000000296C: 69797481
	v_cmp_le_u32_e32 vcc, s53, v189                            // 000000002970: 7D977A35
	v_subrev_u32_e32 v187, s53, v189                           // 000000002974: 6D777A35
	s_nop 0                                                    // 000000002978: BF800000
	v_cndmask_b32_e32 v186, v186, v188, vcc                    // 00000000297C: 017579BA
	v_cndmask_b32_e32 v189, v189, v187, vcc                    // 000000002980: 017B77BD
	v_add_u32_e32 v187, 1, v186                                // 000000002984: 69777481
	v_cmp_le_u32_e32 vcc, s53, v189                            // 000000002988: 7D977A35
	s_nop 1                                                    // 00000000298C: BF800001
	v_cndmask_b32_e32 v158, v186, v187, vcc                    // 000000002990: 013D77BA
	v_mul_i32_i24_e32 v188, s53, v158                          // 000000002994: 0D793C35
	v_sub_u32_e32 v188, v155, v188                             // 000000002998: 6B79799B
	v_mul_u32_u24_e32 v188, 0x100, v188                        // 00000000299C: 117978FF 00000100
	v_mul_u32_u24_e32 v199, s49, v158                          // 0000000029A4: 118F3C31
	v_add3_u32 v199, v188, v199, v162                          // 0000000029A8: D1FF00C7 068B8FBC
	v_mul_u32_u24_e32 v201, s67, v158                          // 0000000029B0: 11933C43
	v_add3_u32 v201, v188, v201, v162                          // 0000000029B4: D1FF00C9 068B93BC
	s_lshl_b32 s54, s57, 6                                     // 0000000029BC: 8E368639
	v_lshrrev_b32_e32 v162, 4, v0                              // 0000000029C0: 21440084
	v_lshlrev_b32_e32 v162, 4, v162                            // 0000000029C4: 25454484
	v_add_u32_e32 v162, s54, v162                              // 0000000029C8: 69454436
	v_and_b32_e32 v154, 15, v0                                 // 0000000029CC: 2734008F
	v_add_u32_e64 v155, v154, 16                               // 0000000029D0: D134009B 0001219A
	s_mul_i32 s54, s48, s53                                    // 0000000029D8: 92363530
	s_lshl_b32 s54, s54, 2                                     // 0000000029DC: 8E368236
	s_mul_i32 s55, s54, 0x80                                   // 0000000029E0: 9237FF36 00000080
	v_cvt_f32_u32_e32 v186, s53                                // 0000000029E8: 7F740C35
	v_sub_i32 v158, 0, s53                                     // 0000000029EC: D29D009E 00006A80
	v_rcp_iflag_f32_e32 v186, v186                             // 0000000029F4: 7F7447BA
	s_nop 0                                                    // 0000000029F8: BF800000
	v_mul_f32_e32 v186, 0x4f7ffffe, v186                       // 0000000029FC: 0B7574FF 4F7FFFFE
	v_cvt_u32_f32_e32 v186, v186                               // 000000002A04: 7F740FBA
	v_mul_lo_u32 v187, v158, v186                              // 000000002A08: D28500BB 0003759E
	v_mul_hi_u32 v187, v186, v187                              // 000000002A10: D28600BB 000377BA
	v_add_u32_e32 v186, v186, v187                             // 000000002A18: 697577BA
	v_mul_hi_u32 v186, v154, v186                              // 000000002A1C: D28600BA 0003759A
	v_mul_lo_u32 v187, v186, s53                               // 000000002A24: D28500BB 00006BBA
	v_sub_u32_e32 v189, v154, v187                             // 000000002A2C: 6B7B779A
	v_add_u32_e32 v188, 1, v186                                // 000000002A30: 69797481
	v_cmp_le_u32_e32 vcc, s53, v189                            // 000000002A34: 7D977A35
	v_subrev_u32_e32 v187, s53, v189                           // 000000002A38: 6D777A35
	s_nop 0                                                    // 000000002A3C: BF800000
	v_cndmask_b32_e32 v186, v186, v188, vcc                    // 000000002A40: 017579BA
	v_cndmask_b32_e32 v189, v189, v187, vcc                    // 000000002A44: 017B77BD
	v_add_u32_e32 v187, 1, v186                                // 000000002A48: 69777481
	v_cmp_le_u32_e32 vcc, s53, v189                            // 000000002A4C: 7D977A35
	s_nop 1                                                    // 000000002A50: BF800001
	v_cndmask_b32_e32 v158, v186, v187, vcc                    // 000000002A54: 013D77BA
	v_mul_i32_i24_e32 v188, s53, v158                          // 000000002A58: 0D793C35
	v_sub_u32_e32 v188, v154, v188                             // 000000002A5C: 6B79799A
	v_lshlrev_b32_e32 v189, 2, v188                            // 000000002A60: 257B7882
	v_mul_u32_u24_e32 v210, s54, v158                          // 000000002A64: 11A53C36
	v_add_u32_e32 v210, v189, v210                             // 000000002A68: 69A5A5BD
	v_mul_u32_u24_e32 v189, 0x200, v188                        // 000000002A6C: 117B78FF 00000200
	v_mul_u32_u24_e32 v212, s55, v158                          // 000000002A74: 11A93C37
	v_add3_u32 v212, v189, v212, v162                          // 000000002A78: D1FF00D4 068BA9BD
	v_cvt_f32_u32_e32 v186, s53                                // 000000002A80: 7F740C35
	v_sub_i32 v158, 0, s53                                     // 000000002A84: D29D009E 00006A80
	v_rcp_iflag_f32_e32 v186, v186                             // 000000002A8C: 7F7447BA
	s_nop 0                                                    // 000000002A90: BF800000
	v_mul_f32_e32 v186, 0x4f7ffffe, v186                       // 000000002A94: 0B7574FF 4F7FFFFE
	v_cvt_u32_f32_e32 v186, v186                               // 000000002A9C: 7F740FBA
	v_mul_lo_u32 v187, v158, v186                              // 000000002AA0: D28500BB 0003759E
	v_mul_hi_u32 v187, v186, v187                              // 000000002AA8: D28600BB 000377BA
	v_add_u32_e32 v186, v186, v187                             // 000000002AB0: 697577BA
	v_mul_hi_u32 v186, v155, v186                              // 000000002AB4: D28600BA 0003759B
	v_mul_lo_u32 v187, v186, s53                               // 000000002ABC: D28500BB 00006BBA
	v_sub_u32_e32 v189, v155, v187                             // 000000002AC4: 6B7B779B
	v_add_u32_e32 v188, 1, v186                                // 000000002AC8: 69797481
	v_cmp_le_u32_e32 vcc, s53, v189                            // 000000002ACC: 7D977A35
	v_subrev_u32_e32 v187, s53, v189                           // 000000002AD0: 6D777A35
	s_nop 0                                                    // 000000002AD4: BF800000
	v_cndmask_b32_e32 v186, v186, v188, vcc                    // 000000002AD8: 017579BA
	v_cndmask_b32_e32 v189, v189, v187, vcc                    // 000000002ADC: 017B77BD
	v_add_u32_e32 v187, 1, v186                                // 000000002AE0: 69777481
	v_cmp_le_u32_e32 vcc, s53, v189                            // 000000002AE4: 7D977A35
	s_nop 1                                                    // 000000002AE8: BF800001
	v_cndmask_b32_e32 v158, v186, v187, vcc                    // 000000002AEC: 013D77BA
	v_mul_i32_i24_e32 v188, s53, v158                          // 000000002AF0: 0D793C35
	v_sub_u32_e32 v188, v155, v188                             // 000000002AF4: 6B79799B
	v_lshlrev_b32_e32 v189, 2, v188                            // 000000002AF8: 257B7882
	v_mul_u32_u24_e32 v211, s54, v158                          // 000000002AFC: 11A73C36
	v_add_u32_e32 v211, v189, v211                             // 000000002B00: 69A7A7BD
	v_mul_u32_u24_e32 v189, 0x200, v188                        // 000000002B04: 117B78FF 00000200
	v_mul_u32_u24_e32 v213, s55, v158                          // 000000002B0C: 11AB3C37
	v_add3_u32 v213, v189, v213, v162                          // 000000002B10: D1FF00D5 068BABBD
	s_lshl_b32 s54, s57, 5                                     // 000000002B18: 8E368539
	v_and_b32_e32 v186, 15, v0                                 // 000000002B1C: 2774008F
	v_mul_i32_i24_e32 v186, 0x90, v186                         // 000000002B20: 0D7574FF 00000090
	v_lshrrev_b32_e32 v187, 4, v0                              // 000000002B28: 21760084
	v_lshlrev_b32_e32 v187, 3, v187                            // 000000002B2C: 25777683
	v_add3_u32 v214, v186, v187, s54                           // 000000002B30: D1FF00D6 00DB77BA
	v_and_b32_e32 v215, 15, v0                                 // 000000002B38: 27AE008F
	v_lshlrev_b32_e32 v215, 3, v215                            // 000000002B3C: 25AFAE83
	s_mul_i32 s54, s57, 0x240                                  // 000000002B40: 9236FF39 00000240
	v_lshrrev_b32_e32 v186, 4, v0                              // 000000002B48: 21740084
	v_lshlrev_b32_e32 v186, 7, v186                            // 000000002B4C: 25757487
	v_lshrrev_b32_e32 v187, 5, v0                              // 000000002B50: 21760085
	v_lshlrev_b32_e32 v187, 5, v187                            // 000000002B54: 25777685
	v_and_b32_e32 v188, 15, v0                                 // 000000002B58: 2778008F
	v_lshlrev_b32_e32 v188, 3, v188                            // 000000002B5C: 25797883
	v_add3_u32 v186, v186, v187, v188                          // 000000002B60: D1FF00BA 06F377BA
	v_add_u32_e32 v216, s54, v186                              // 000000002B68: 69B17436
	v_and_b32_e32 v186, 15, v0                                 // 000000002B6C: 2774008F
	v_lshlrev_b32_e32 v187, 7, v186                            // 000000002B70: 25777487
	v_lshrrev_b32_e32 v186, 1, v186                            // 000000002B74: 21757481
	v_lshlrev_b32_e32 v186, 5, v186                            // 000000002B78: 25757485
	v_lshrrev_b32_e32 v188, 4, v0                              // 000000002B7C: 21780084
	v_lshlrev_b32_e32 v188, 4, v188                            // 000000002B80: 25797884
	v_add3_u32 v217, v186, v187, v188                          // 000000002B84: D1FF00D9 06F377BA
	s_mul_i32 s54, s57, 0x240                                  // 000000002B8C: 9236FF39 00000240
	v_lshrrev_b32_e32 v186, 5, v0                              // 000000002B94: 21740085
	v_mul_i32_i24_e32 v186, 0x120, v186                        // 000000002B98: 0D7574FF 00000120
	v_lshrrev_b32_e32 v187, 4, v0                              // 000000002BA0: 21760084
	v_and_b32_e32 v187, 1, v187                                // 000000002BA4: 27777681
	v_lshlrev_b32_e32 v187, 3, v187                            // 000000002BA8: 25777683
	v_and_b32_e32 v188, 15, v0                                 // 000000002BAC: 2778008F
	v_lshlrev_b32_e32 v188, 4, v188                            // 000000002BB0: 25797884
	v_add3_u32 v218, v186, v187, v188                          // 000000002BB4: D1FF00DA 06F377BA
	v_add_u32_e32 v218, s54, v218                              // 000000002BBC: 69B5B436
	s_lshl_b32 s54, s57, 6                                     // 000000002BC0: 8E368639
	v_lshrrev_b32_e32 v186, 4, v0                              // 000000002BC4: 21740084
	v_lshlrev_b32_e32 v186, 4, v186                            // 000000002BC8: 25757484
	v_and_b32_e32 v187, 15, v0                                 // 000000002BCC: 2776008F
	v_mul_i32_i24_e32 v187, 0x120, v187                        // 000000002BD0: 0D7776FF 00000120
	v_add3_u32 v219, v186, v187, s54                           // 000000002BD8: D1FF00DB 00DB77BA
	v_lshrrev_b32_e32 v186, 4, v0                              // 000000002BE0: 21740084
	v_and_b32_e32 v187, 15, v0                                 // 000000002BE4: 2776008F
	v_lshlrev_b32_e32 v188, 4, v187                            // 000000002BE8: 25797684
	v_mul_i32_i24_e32 v202, 0x1000, v186                       // 000000002BEC: 0D9574FF 00001000
	v_add_u32_e32 v202, v188, v202                             // 000000002BF4: 699595BC
	v_add_u32_e32 v203, 0x4000, v202                           // 000000002BF8: 699794FF 00004000
	v_mul_i32_i24_e32 v204, 0x800, v186                        // 000000002C00: 0D9974FF 00000800
	v_add_u32_e32 v204, v188, v204                             // 000000002C08: 699999BC
	v_add_u32_e32 v205, 0x2000, v204                           // 000000002C0C: 699B98FF 00002000
	v_add_u32_e32 v206, 0x2000, v205                           // 000000002C14: 699D9AFF 00002000
	v_add_u32_e32 v207, 0x2000, v206                           // 000000002C1C: 699F9CFF 00002000
	v_mov_b32_e32 v208, 0                                      // 000000002C24: 7FA00280
	v_mov_b32_e32 v209, 0                                      // 000000002C28: 7FA20280
	s_lshl_b32 s54, s57, 4                                     // 000000002C2C: 8E368439
	v_lshrrev_b32_e32 v196, 4, v0                              // 000000002C30: 21880084
	v_lshlrev_b32_e32 v196, 2, v196                            // 000000002C34: 25898882
	v_add_u32_e32 v196, s54, v196                              // 000000002C38: 69898836
	s_lshl_b32 s54, s57, 6                                     // 000000002C3C: 8E368639
	v_add_u32_e32 v220, s54, v0                                // 000000002C40: 69B80036
	v_lshlrev_b32_e32 v220, 3, v220                            // 000000002C44: 25B9B883
	v_and_b32_e32 v221, 15, v0                                 // 000000002C48: 27BA008F
	v_lshlrev_b32_e32 v221, 3, v221                            // 000000002C4C: 25BBBA83
	s_lshl_b32 s54, s57, 8                                     // 000000002C50: 8E368839
	v_and_b32_e32 v187, 15, v0                                 // 000000002C54: 2776008F
	v_lshlrev_b32_e32 v187, 4, v187                            // 000000002C58: 25777684
	v_lshrrev_b32_e32 v188, 4, v0                              // 000000002C5C: 21780084
	v_lshlrev_b32_e32 v188, 2, v188                            // 000000002C60: 25797882
	v_add3_u32 v222, v187, v188, s54                           // 000000002C64: D1FF00DE 00DB79BB
	v_and_b32_e32 v186, 15, v0                                 // 000000002C6C: 2774008F
	v_lshlrev_b32_e32 v186, 4, v186                            // 000000002C70: 25757484
	v_lshrrev_b32_e32 v187, 4, v0                              // 000000002C74: 21760084
	v_lshlrev_b32_e32 v187, 8, v187                            // 000000002C78: 25777688
	v_add_u32_e32 v223, v186, v187                             // 000000002C7C: 69BF77BA
	s_waitcnt lgkmcnt(0)                                       // 000000002C80: BF8CC07F

0000000000002c84 <label_01A1>:
	s_cmp_lt_i32 s80, s81                                      // 000000002C84: BF045150
	s_cbranch_scc0 label_1BBF                                  // 000000002C88: BF841A1C
	s_lshl_b32 s54, s80, 5                                     // 000000002C8C: 8E368550
	s_load_dwordx8 s[72:79], s[38:39], s54                     // 000000002C90: C00C1213 00000036
	v_mov_b32_e32 v138, 0xff7fffff                             // 000000002C98: 7F1402FF FF7FFFFF
	v_mov_b64_e32 v[142:143], 0                                // 000000002CA0: 7F1C7080
	v_mov_b64_e32 v[146:147], 0                                // 000000002CA4: 7F247080
	v_mov_b64_e32 v[132:133], 0                                // 000000002CA8: 7F087080
	v_mov_b32_e32 v139, 0xff7fffff                             // 000000002CAC: 7F1602FF FF7FFFFF
	v_mov_b64_e32 v[144:145], 0                                // 000000002CB4: 7F207080
	v_mov_b64_e32 v[148:149], 0                                // 000000002CB8: 7F287080
	v_mov_b64_e32 v[134:135], 0                                // 000000002CBC: 7F0C7080
	v_mov_b32_e32 v108, 0                                      // 000000002CC0: 7ED80280
	v_mov_b32_e32 v92, 0                                       // 000000002CC4: 7EB80280
	v_mov_b32_e32 v109, 0                                      // 000000002CC8: 7EDA0280
	v_mov_b32_e32 v93, 0                                       // 000000002CCC: 7EBA0280
	v_mov_b32_e32 v110, 0                                      // 000000002CD0: 7EDC0280
	v_mov_b32_e32 v94, 0                                       // 000000002CD4: 7EBC0280
	v_mov_b32_e32 v111, 0                                      // 000000002CD8: 7EDE0280
	v_mov_b32_e32 v95, 0                                       // 000000002CDC: 7EBE0280
	v_mov_b32_e32 v112, 0                                      // 000000002CE0: 7EE00280
	v_mov_b32_e32 v96, 0                                       // 000000002CE4: 7EC00280
	v_mov_b32_e32 v113, 0                                      // 000000002CE8: 7EE20280
	v_mov_b32_e32 v97, 0                                       // 000000002CEC: 7EC20280
	v_mov_b32_e32 v114, 0                                      // 000000002CF0: 7EE40280
	v_mov_b32_e32 v98, 0                                       // 000000002CF4: 7EC40280
	v_mov_b32_e32 v115, 0                                      // 000000002CF8: 7EE60280
	v_mov_b32_e32 v99, 0                                       // 000000002CFC: 7EC60280
	v_mov_b32_e32 v116, 0                                      // 000000002D00: 7EE80280
	v_mov_b32_e32 v100, 0                                      // 000000002D04: 7EC80280
	v_mov_b32_e32 v117, 0                                      // 000000002D08: 7EEA0280
	v_mov_b32_e32 v101, 0                                      // 000000002D0C: 7ECA0280
	v_mov_b32_e32 v118, 0                                      // 000000002D10: 7EEC0280
	v_mov_b32_e32 v102, 0                                      // 000000002D14: 7ECC0280
	v_mov_b32_e32 v119, 0                                      // 000000002D18: 7EEE0280
	v_mov_b32_e32 v103, 0                                      // 000000002D1C: 7ECE0280
	v_mov_b32_e32 v120, 0                                      // 000000002D20: 7EF00280
	v_mov_b32_e32 v104, 0                                      // 000000002D24: 7ED00280
	v_mov_b32_e32 v121, 0                                      // 000000002D28: 7EF20280
	v_mov_b32_e32 v105, 0                                      // 000000002D2C: 7ED20280
	v_mov_b32_e32 v122, 0                                      // 000000002D30: 7EF40280
	v_mov_b32_e32 v106, 0                                      // 000000002D34: 7ED40280
	v_mov_b32_e32 v123, 0                                      // 000000002D38: 7EF60280
	v_mov_b32_e32 v107, 0                                      // 000000002D3C: 7ED60280
	s_waitcnt lgkmcnt(0)                                       // 000000002D40: BF8CC07F
	s_mul_i32 s64, s76, 0x100                                  // 000000002D44: 9240FF4C 00000100
	s_lshl_b32 s54, s72, 2                                     // 000000002D4C: 8E368248
	s_load_dword s60, s[44:45], s54                            // 000000002D50: C0000F16 00000036
	s_load_dword s61, s[40:41], s54                            // 000000002D58: C0000F54 00000036
	s_lshl_b32 s68, s76, 2                                     // 000000002D60: 8E44824C
	s_cmp_lt_u32 s76, s77                                      // 000000002D64: BF0A4D4C
	s_cselect_b32 s68, s68, 0                                  // 000000002D68: 85448044
	s_addk_i32 s76, 0x1                                        // 000000002D6C: B74C0001
	s_load_dword s59, s[42:43], s68                            // 000000002D70: C0000ED5 00000044
	s_and_b32 s79, s79, 0xffff                                 // 000000002D78: 864FFF4F 0000FFFF
	v_cvt_f32_u32_e32 v186, s53                                // 000000002D80: 7F740C35
	s_sub_i32 s78, 0, s53                                      // 000000002D84: 81CE3580
	v_rcp_iflag_f32_e32 v186, v186                             // 000000002D88: 7F7447BA
	s_nop 0                                                    // 000000002D8C: BF800000
	v_mul_f32_e32 v186, 0x4f7ffffe, v186                       // 000000002D90: 0B7574FF 4F7FFFFE
	v_cvt_u32_f32_e32 v186, v186                               // 000000002D98: 7F740FBA
	v_mul_lo_u32 v187, s78, v186                               // 000000002D9C: D28500BB 0003744E
	v_mul_hi_u32 v187, v186, v187                              // 000000002DA4: D28600BB 000377BA
	v_add_u32_e32 v186, v186, v187                             // 000000002DAC: 697577BA
	v_mul_hi_u32 v186, s79, v186                               // 000000002DB0: D28600BA 0003744F
	v_mul_lo_u32 v187, v186, s53                               // 000000002DB8: D28500BB 00006BBA
	v_sub_u32_e32 v189, s79, v187                              // 000000002DC0: 6B7B764F
	v_add_u32_e32 v188, 1, v186                                // 000000002DC4: 69797481
	v_cmp_le_u32_e32 vcc, s53, v189                            // 000000002DC8: 7D977A35
	v_subrev_u32_e32 v187, s53, v189                           // 000000002DCC: 6D777A35
	s_nop 0                                                    // 000000002DD0: BF800000
	v_cndmask_b32_e32 v186, v186, v188, vcc                    // 000000002DD4: 017579BA
	v_cndmask_b32_e32 v189, v189, v187, vcc                    // 000000002DD8: 017B77BD
	v_add_u32_e32 v187, 1, v186                                // 000000002DDC: 69777481
	v_cmp_le_u32_e32 vcc, s53, v189                            // 000000002DE0: 7D977A35
	s_nop 1                                                    // 000000002DE4: BF800001
	v_cndmask_b32_e32 v189, v186, v187, vcc                    // 000000002DE8: 017B77BA
	s_nop 3                                                    // 000000002DEC: BF800003
	v_readfirstlane_b32 s78, v189                              // 000000002DF0: 7E9C05BD
	s_nop 3                                                    // 000000002DF4: BF800003
	s_mul_i32 s65, s53, 0x100                                  // 000000002DF8: 9241FF35 00000100
	s_add_u32 s54, s52, 1                                      // 000000002E00: 80368134
	s_mul_i32 s54, s49, s54                                    // 000000002E04: 92363631
	s_mul_i32 s54, s72, s54                                    // 000000002E08: 92363648
	s_mul_i32 s55, s78, s65                                    // 000000002E0C: 9237414E
	s_add_u32 s54, s54, s55                                    // 000000002E10: 80363736
	s_add_u32 s8, s84, s54                                     // 000000002E14: 80083654
	s_addc_u32 s9, s85, 0                                      // 000000002E18: 82098055
	s_mul_i32 s54, s52, s49                                    // 000000002E1C: 92363134
	s_add_u32 s10, s54, s65                                    // 000000002E20: 800A4136
	s_add_u32 s54, s52, 1                                      // 000000002E24: 80368134
	s_mul_i32 s54, s54, s67                                    // 000000002E28: 92364336
	s_mul_i32 s54, s54, s72                                    // 000000002E2C: 92364836
	s_mul_i32 s55, s78, s65                                    // 000000002E30: 9237414E
	s_add_u32 s54, s54, s55                                    // 000000002E34: 80363736
	s_add_u32 s4, s82, s54                                     // 000000002E38: 80043652
	s_addc_u32 s5, s83, 0                                      // 000000002E3C: 82058053
	s_mul_i32 s54, s52, s67                                    // 000000002E40: 92364334
	s_add_u32 s6, s54, s65                                     // 000000002E44: 80064136
	s_mul_i32 s55, s53, 0x200                                  // 000000002E48: 9237FF35 00000200
	s_mul_i32 s54, s73, s48                                    // 000000002E50: 92363049
	s_add_u32 s54, s54, s78                                    // 000000002E54: 80364E36
	s_mul_i32 s54, s54, s55                                    // 000000002E58: 92363736
	s_add_u32 s28, s94, s54                                    // 000000002E5C: 801C365E
	s_addc_u32 s29, s95, 0                                     // 000000002E60: 821D805F
	s_add_u32 s54, s52, 1                                      // 000000002E64: 80368134
	s_mul_i32 s54, s54, s48                                    // 000000002E68: 92363036
	s_mul_i32 s30, s54, s55                                    // 000000002E6C: 921E3736
	s_mul_i32 s55, s53, 4                                      // 000000002E70: 92378435
	s_mul_i32 s54, s73, s48                                    // 000000002E74: 92363049
	s_add_u32 s54, s54, s78                                    // 000000002E78: 80364E36
	s_mul_i32 s54, s54, s55                                    // 000000002E7C: 92363736
	s_add_u32 s32, s96, s54                                    // 000000002E80: 80203660
	s_addc_u32 s33, s97, 0                                     // 000000002E84: 82218061
	s_add_u32 s54, s52, 1                                      // 000000002E88: 80368134
	s_mul_i32 s54, s54, s48                                    // 000000002E8C: 92363036
	s_mul_i32 s34, s54, s55                                    // 000000002E90: 92223736
	buffer_load_dwordx4 v[4:7], v198, s[8:11], 0 offen         // 000000002E94: E05C1000 800204C6
	buffer_load_dwordx4 v[8:11], v199, s[8:11], 0 offen        // 000000002E9C: E05C1000 800208C7
	s_waitcnt lgkmcnt(0)                                       // 000000002EA4: BF8CC07F
	s_mul_i32 s54, s60, 0x100                                  // 000000002EA8: 9236FF3C 00000100
	s_sub_i32 s64, s64, s54                                    // 000000002EB0: 81C03640
	s_mul_i32 s69, s59, s50                                    // 000000002EB4: 9245323B
	s_mul_i32 s71, s59, s66                                    // 000000002EB8: 9247423B
	s_mul_i32 s54, s78, s51                                    // 000000002EBC: 9236334E
	s_add_u32 s69, s69, s54                                    // 000000002EC0: 80453645
	s_mov_b32 s70, s69                                         // 000000002EC4: BEC60045
	s_mul_i32 s54, s78, 4                                      // 000000002EC8: 9236844E
	s_add_u32 s71, s71, s54                                    // 000000002ECC: 80473647
	s_add_u32 s12, s86, s69                                    // 000000002ED0: 800C4556
	s_addc_u32 s13, s87, 0                                     // 000000002ED4: 820D8057
	s_add_u32 s16, s88, s70                                    // 000000002ED8: 80104658
	s_addc_u32 s17, s89, 0                                     // 000000002EDC: 82118059
	s_add_u32 s20, s90, s71                                    // 000000002EE0: 8014475A
	s_addc_u32 s21, s91, 0                                     // 000000002EE4: 8215805B
	s_add_u32 s24, s92, s71                                    // 000000002EE8: 8018475C
	s_addc_u32 s25, s93, 0                                     // 000000002EEC: 8219805D
	buffer_load_dwordx4 a[0:3], v202, s[12:15], 0 offen        // 000000002EF0: E05C1000 808300CA
	buffer_load_dwordx4 a[4:7], v203, s[12:15], 0 offen        // 000000002EF8: E05C1000 808304CB
	buffer_load_dwordx4 a[8:11], v202, s[12:15], 0 offen offset:1024// 000000002F00: E05C1400 808308CA
	buffer_load_dwordx4 a[12:15], v203, s[12:15], 0 offen offset:1024// 000000002F08: E05C1400 80830CCB
	buffer_load_dwordx4 a[16:19], v202, s[12:15], 0 offen offset:2048// 000000002F10: E05C1800 808310CA
	buffer_load_dwordx4 a[20:23], v203, s[12:15], 0 offen offset:2048// 000000002F18: E05C1800 808314CB
	buffer_load_dwordx4 a[24:27], v202, s[12:15], 0 offen offset:3072// 000000002F20: E05C1C00 808318CA
	buffer_load_dwordx4 a[28:31], v203, s[12:15], 0 offen offset:3072// 000000002F28: E05C1C00 80831CCB
	buffer_load_dword v128, v208, s[20:23], 0 offen            // 000000002F30: E0501000 800580D0
	buffer_load_dword v130, v209, s[24:27], 0 offen            // 000000002F38: E0501000 800682D1
	buffer_load_dwordx4 a[64:67], v204, s[16:19], 0 offen      // 000000002F40: E05C1000 808440CC
	buffer_load_dwordx4 a[68:71], v205, s[16:19], 0 offen      // 000000002F48: E05C1000 808444CD
	buffer_load_dwordx4 a[72:75], v206, s[16:19], 0 offen      // 000000002F50: E05C1000 808448CE
	buffer_load_dwordx4 a[76:79], v207, s[16:19], 0 offen      // 000000002F58: E05C1000 80844CCF
	buffer_load_dwordx4 a[80:83], v204, s[16:19], 0 offen offset:1024// 000000002F60: E05C1400 808450CC
	buffer_load_dwordx4 a[84:87], v205, s[16:19], 0 offen offset:1024// 000000002F68: E05C1400 808454CD
	buffer_load_dwordx4 a[88:91], v206, s[16:19], 0 offen offset:1024// 000000002F70: E05C1400 808458CE
	buffer_load_dwordx4 a[92:95], v207, s[16:19], 0 offen offset:1024// 000000002F78: E05C1400 80845CCF
	s_sub_i32 s54, s77, s60                                    // 000000002F80: 81B63C4D
	s_mul_i32 s62, s54, 0x100                                  // 000000002F84: 923EFF36 00000100
	s_cmp_lt_i32 s62, s61                                      // 000000002F8C: BF043D3E
	s_cselect_b32 s62, s62, s61                                // 000000002F90: 853E3D3E
	s_sub_i32 s54, s61, s52                                    // 000000002F94: 81B6343D
	v_and_b32_e32 v154, 15, v0                                 // 000000002F98: 2734008F
	v_add_u32_e32 v155, 16, v154                               // 000000002F9C: 69373490
	s_cmp_lt_i32 s62, s54                                      // 000000002FA0: BF04363E
	s_cselect_b32 s63, s62, s54                                // 000000002FA4: 853F363E
	s_and_b32 s63, s63, 0xffffff00                             // 000000002FA8: 863FFF3F FFFFFF00
	v_cvt_f32_u32_e32 v186, s53                                // 000000002FB0: 7F740C35
	v_sub_i32 v156, 0, s53                                     // 000000002FB4: D29D009C 00006A80
	v_rcp_iflag_f32_e32 v186, v186                             // 000000002FBC: 7F7447BA
	s_nop 0                                                    // 000000002FC0: BF800000
	v_mul_f32_e32 v186, 0x4f7ffffe, v186                       // 000000002FC4: 0B7574FF 4F7FFFFE
	v_cvt_u32_f32_e32 v186, v186                               // 000000002FCC: 7F740FBA
	v_mul_lo_u32 v187, v156, v186                              // 000000002FD0: D28500BB 0003759C
	v_mul_hi_u32 v187, v186, v187                              // 000000002FD8: D28600BB 000377BA
	v_add_u32_e32 v186, v186, v187                             // 000000002FE0: 697577BA
	v_mul_hi_u32 v186, v154, v186                              // 000000002FE4: D28600BA 0003759A
	v_mul_lo_u32 v187, v186, s53                               // 000000002FEC: D28500BB 00006BBA
	v_sub_u32_e32 v189, v154, v187                             // 000000002FF4: 6B7B779A
	v_add_u32_e32 v188, 1, v186                                // 000000002FF8: 69797481
	v_cmp_le_u32_e32 vcc, s53, v189                            // 000000002FFC: 7D977A35
	v_subrev_u32_e32 v187, s53, v189                           // 000000003000: 6D777A35
	s_nop 0                                                    // 000000003004: BF800000
	v_cndmask_b32_e32 v186, v186, v188, vcc                    // 000000003008: 017579BA
	v_cndmask_b32_e32 v189, v189, v187, vcc                    // 00000000300C: 017B77BD
	v_add_u32_e32 v187, 1, v186                                // 000000003010: 69777481
	v_cmp_le_u32_e32 vcc, s53, v189                            // 000000003014: 7D977A35
	s_nop 1                                                    // 000000003018: BF800001
	v_cndmask_b32_e32 v156, v186, v187, vcc                    // 00000000301C: 013977BA
	v_add_u32_e32 v194, s54, v156                              // 000000003020: 69853836
	v_cmp_lt_u32_e32 vcc, s62, v194                            // 000000003024: 7D93843E
	v_mov_b32_e32 v186, s62                                    // 000000003028: 7F74023E
	v_cndmask_b32_e32 v194, v194, v186, vcc                    // 00000000302C: 018575C2
	v_cvt_f32_u32_e32 v186, s53                                // 000000003030: 7F740C35
	v_sub_i32 v156, 0, s53                                     // 000000003034: D29D009C 00006A80
	v_rcp_iflag_f32_e32 v186, v186                             // 00000000303C: 7F7447BA
	s_nop 0                                                    // 000000003040: BF800000
	v_mul_f32_e32 v186, 0x4f7ffffe, v186                       // 000000003044: 0B7574FF 4F7FFFFE
	v_cvt_u32_f32_e32 v186, v186                               // 00000000304C: 7F740FBA
	v_mul_lo_u32 v187, v156, v186                              // 000000003050: D28500BB 0003759C
	v_mul_hi_u32 v187, v186, v187                              // 000000003058: D28600BB 000377BA
	v_add_u32_e32 v186, v186, v187                             // 000000003060: 697577BA
	v_mul_hi_u32 v186, v155, v186                              // 000000003064: D28600BA 0003759B
	v_mul_lo_u32 v187, v186, s53                               // 00000000306C: D28500BB 00006BBA
	v_sub_u32_e32 v189, v155, v187                             // 000000003074: 6B7B779B
	v_add_u32_e32 v188, 1, v186                                // 000000003078: 69797481
	v_cmp_le_u32_e32 vcc, s53, v189                            // 00000000307C: 7D977A35
	v_subrev_u32_e32 v187, s53, v189                           // 000000003080: 6D777A35
	s_nop 0                                                    // 000000003084: BF800000
	v_cndmask_b32_e32 v186, v186, v188, vcc                    // 000000003088: 017579BA
	v_cndmask_b32_e32 v189, v189, v187, vcc                    // 00000000308C: 017B77BD
	v_add_u32_e32 v187, 1, v186                                // 000000003090: 69777481
	v_cmp_le_u32_e32 vcc, s53, v189                            // 000000003094: 7D977A35
	s_nop 1                                                    // 000000003098: BF800001
	v_cndmask_b32_e32 v156, v186, v187, vcc                    // 00000000309C: 013977BA
	v_add_u32_e32 v195, s54, v156                              // 0000000030A0: 69873836
	v_cmp_lt_u32_e32 vcc, s62, v195                            // 0000000030A4: 7D93863E
	v_mov_b32_e32 v186, s62                                    // 0000000030A8: 7F74023E
	v_cndmask_b32_e32 v195, v195, v186, vcc                    // 0000000030AC: 018775C3
	s_waitcnt vmcnt(18)                                        // 0000000030B0: BF8C4F72
	v_lshlrev_b32_e32 v12, 16, v4                              // 0000000030B4: 24180890
	v_and_b32_e32 v13, 0xffff0000, v4                          // 0000000030B8: 261A08FF FFFF0000
	v_lshlrev_b32_e32 v14, 16, v5                              // 0000000030C0: 241C0A90
	v_and_b32_e32 v15, 0xffff0000, v5                          // 0000000030C4: 261E0AFF FFFF0000
	v_lshlrev_b32_e32 v16, 16, v6                              // 0000000030CC: 24200C90
	v_and_b32_e32 v17, 0xffff0000, v6                          // 0000000030D0: 26220CFF FFFF0000
	v_lshlrev_b32_e32 v18, 16, v7                              // 0000000030D8: 24240E90
	v_and_b32_e32 v19, 0xffff0000, v7                          // 0000000030DC: 26260EFF FFFF0000
	v_lshlrev_b32_e32 v20, 16, v8                              // 0000000030E4: 24281090
	v_and_b32_e32 v21, 0xffff0000, v8                          // 0000000030E8: 262A10FF FFFF0000
	v_lshlrev_b32_e32 v22, 16, v9                              // 0000000030F0: 242C1290
	v_and_b32_e32 v23, 0xffff0000, v9                          // 0000000030F4: 262E12FF FFFF0000
	v_lshlrev_b32_e32 v24, 16, v10                             // 0000000030FC: 24301490
	v_and_b32_e32 v25, 0xffff0000, v10                         // 000000003100: 263214FF FFFF0000
	v_lshlrev_b32_e32 v26, 16, v11                             // 000000003108: 24341690
	v_and_b32_e32 v27, 0xffff0000, v11                         // 00000000310C: 263616FF FFFF0000
	v_mov_b32_e32 v150, 0x358637bd                             // 000000003114: 7F2C02FF 358637BD
	v_max3_f32 v150, |v12|, |v13|, v150                        // 00000000311C: D1D30396 065A1B0C
	v_max3_f32 v150, |v14|, |v15|, v150                        // 000000003124: D1D30396 065A1F0E
	v_max3_f32 v150, |v16|, |v17|, v150                        // 00000000312C: D1D30396 065A2310
	v_max3_f32 v150, |v18|, |v19|, v150                        // 000000003134: D1D30396 065A2712
	v_mov_b32_e32 v151, 0x358637bd                             // 00000000313C: 7F2E02FF 358637BD
	v_max3_f32 v151, |v20|, |v21|, v151                        // 000000003144: D1D30397 065E2B14
	v_max3_f32 v151, |v22|, |v23|, v151                        // 00000000314C: D1D30397 065E2F16
	v_max3_f32 v151, |v24|, |v25|, v151                        // 000000003154: D1D30397 065E3318
	v_max3_f32 v151, |v26|, |v27|, v151                        // 00000000315C: D1D30397 065E371A
	ds_write_b64 v214, v[150:151] offset:2304                  // 000000003164: D89A0900 000096D6
	s_waitcnt lgkmcnt(0)                                       // 00000000316C: BF8CC07F
	s_barrier                                                  // 000000003170: BF8A0000
	ds_read_b64 v[154:155], v215 offset:2304                   // 000000003174: D8EC0900 9A0000D7
	ds_read_b64 v[156:157], v215 offset:2448                   // 00000000317C: D8EC0990 9C0000D7
	ds_read_b64 v[158:159], v215 offset:2592                   // 000000003184: D8EC0A20 9E0000D7
	ds_read_b64 v[160:161], v215 offset:2736                   // 00000000318C: D8EC0AB0 A00000D7
	ds_read_b64 v[162:163], v215 offset:2880                   // 000000003194: D8EC0B40 A20000D7
	ds_read_b64 v[164:165], v215 offset:3024                   // 00000000319C: D8EC0BD0 A40000D7
	ds_read_b64 v[166:167], v215 offset:3168                   // 0000000031A4: D8EC0C60 A60000D7
	ds_read_b64 v[168:169], v215 offset:3312                   // 0000000031AC: D8EC0CF0 A80000D7
	ds_read_b64 v[170:171], v215 offset:3456                   // 0000000031B4: D8EC0D80 AA0000D7
	ds_read_b64 v[172:173], v215 offset:3600                   // 0000000031BC: D8EC0E10 AC0000D7
	ds_read_b64 v[174:175], v215 offset:3744                   // 0000000031C4: D8EC0EA0 AE0000D7
	ds_read_b64 v[176:177], v215 offset:3888                   // 0000000031CC: D8EC0F30 B00000D7
	ds_read_b64 v[178:179], v215 offset:4032                   // 0000000031D4: D8EC0FC0 B20000D7
	ds_read_b64 v[180:181], v215 offset:4176                   // 0000000031DC: D8EC1050 B40000D7
	ds_read_b64 v[182:183], v215 offset:4320                   // 0000000031E4: D8EC10E0 B60000D7
	ds_read_b64 v[184:185], v215 offset:4464                   // 0000000031EC: D8EC1170 B80000D7
	s_waitcnt lgkmcnt(0)                                       // 0000000031F4: BF8CC07F
	v_mov_b32_e32 v150, 0x358637bd                             // 0000000031F8: 7F2C02FF 358637BD
	v_mov_b32_e32 v151, 0x358637bd                             // 000000003200: 7F2E02FF 358637BD
	v_max3_f32 v150, v154, v156, v150                          // 000000003208: D1D30096 065B399A
	v_max3_f32 v151, v155, v157, v151                          // 000000003210: D1D30097 065F3B9B
	v_max3_f32 v150, v158, v160, v150                          // 000000003218: D1D30096 065B419E
	v_max3_f32 v151, v159, v161, v151                          // 000000003220: D1D30097 065F439F
	v_max3_f32 v150, v162, v164, v150                          // 000000003228: D1D30096 065B49A2
	v_max3_f32 v151, v163, v165, v151                          // 000000003230: D1D30097 065F4BA3
	v_max3_f32 v150, v166, v168, v150                          // 000000003238: D1D30096 065B51A6
	v_max3_f32 v151, v167, v169, v151                          // 000000003240: D1D30097 065F53A7
	v_max3_f32 v150, v170, v172, v150                          // 000000003248: D1D30096 065B59AA
	v_max3_f32 v151, v171, v173, v151                          // 000000003250: D1D30097 065F5BAB
	v_max3_f32 v150, v174, v176, v150                          // 000000003258: D1D30096 065B61AE
	v_max3_f32 v151, v175, v177, v151                          // 000000003260: D1D30097 065F63AF
	v_max3_f32 v150, v178, v180, v150                          // 000000003268: D1D30096 065B69B2
	v_max3_f32 v151, v179, v181, v151                          // 000000003270: D1D30097 065F6BB3
	v_max3_f32 v150, v182, v184, v150                          // 000000003278: D1D30096 065B71B6
	v_max3_f32 v151, v183, v185, v151                          // 000000003280: D1D30097 065F73B7
	v_rcp_f32_e32 v150, v150                                   // 000000003288: 7F2C4596
	v_rcp_f32_e32 v151, v151                                   // 00000000328C: 7F2E4597
	v_mul_f32_e32 v150, 0x43700000, v150                       // 000000003290: 0B2D2CFF 43700000
	v_mul_f32_e32 v151, 0x43700000, v151                       // 000000003298: 0B2F2EFF 43700000
	s_lshl_b32 s54, s57, 2                                     // 0000000032A0: 8E368239
	v_lshrrev_b32_e32 v188, 4, v0                              // 0000000032A4: 21780084
	v_add_u32_e32 v188, s54, v188                              // 0000000032A8: 69797836
	v_lshlrev_b32_e32 v188, 2, v188                            // 0000000032AC: 25797882
	ds_bpermute_b32 v186, v188, v150                           // 0000000032B0: D87E0000 BA0096BC
	ds_bpermute_b32 v187, v188, v151                           // 0000000032B8: D87E0000 BB0097BC
	s_waitcnt lgkmcnt(0)                                       // 0000000032C0: BF8CC07F
	v_mul_f32_e32 v12, v12, v186                               // 0000000032C4: 0A19750C
	v_mul_f32_e32 v13, v13, v186                               // 0000000032C8: 0A1B750D
	v_mul_f32_e32 v14, v14, v186                               // 0000000032CC: 0A1D750E
	v_mul_f32_e32 v15, v15, v186                               // 0000000032D0: 0A1F750F
	v_mul_f32_e32 v16, v16, v186                               // 0000000032D4: 0A217510
	v_mul_f32_e32 v17, v17, v186                               // 0000000032D8: 0A237511
	v_mul_f32_e32 v18, v18, v186                               // 0000000032DC: 0A257512
	v_mul_f32_e32 v19, v19, v186                               // 0000000032E0: 0A277513
	v_mul_f32_e32 v20, v20, v187                               // 0000000032E4: 0A297714
	v_mul_f32_e32 v21, v21, v187                               // 0000000032E8: 0A2B7715
	v_mul_f32_e32 v22, v22, v187                               // 0000000032EC: 0A2D7716
	v_mul_f32_e32 v23, v23, v187                               // 0000000032F0: 0A2F7717
	v_mul_f32_e32 v24, v24, v187                               // 0000000032F4: 0A317718
	v_mul_f32_e32 v25, v25, v187                               // 0000000032F8: 0A337719
	v_mul_f32_e32 v26, v26, v187                               // 0000000032FC: 0A35771A
	v_mul_f32_e32 v27, v27, v187                               // 000000003300: 0A37771B
	v_rcp_f32_e32 v124, v150                                   // 000000003304: 7EF84596
	v_rcp_f32_e32 v126, v151                                   // 000000003308: 7EFC4597
	v_mov_b32_e32 v125, v124                                   // 00000000330C: 7EFA037C
	v_mov_b32_e32 v127, v126                                   // 000000003310: 7EFE037E
	v_cvt_pk_fp8_f32 v12, v12, v13                             // 000000003314: D2A2000C 00021B0C
	v_cvt_pk_fp8_f32 v12, v14, v15 op_sel:[0,0,1]              // 00000000331C: D2A2400C 00021F0E
	v_cvt_pk_fp8_f32 v13, v16, v17                             // 000000003324: D2A2000D 00022310
	v_cvt_pk_fp8_f32 v13, v18, v19 op_sel:[0,0,1]              // 00000000332C: D2A2400D 00022712
	v_cvt_pk_fp8_f32 v14, v20, v21                             // 000000003334: D2A2000E 00022B14
	v_cvt_pk_fp8_f32 v14, v22, v23 op_sel:[0,0,1]              // 00000000333C: D2A2400E 00022F16
	v_cvt_pk_fp8_f32 v15, v24, v25                             // 000000003344: D2A2000F 00023318
	v_cvt_pk_fp8_f32 v15, v26, v27 op_sel:[0,0,1]              // 00000000334C: D2A2400F 0002371A
	ds_write_b64 v216, v[12:13] offset:4608                    // 000000003354: D89A1200 00000CD8
	ds_write_b64 v216, v[14:15] offset:6912                    // 00000000335C: D89A1B00 00000ED8
	s_waitcnt lgkmcnt(0)                                       // 000000003364: BF8CC07F
	s_barrier                                                  // 000000003368: BF8A0000
	ds_read_b128 v[12:15], v217 offset:4608                    // 00000000336C: D9FE1200 0C0000D9
	ds_read_b128 v[16:19], v217 offset:4672                    // 000000003374: D9FE1240 100000D9
	ds_read_b128 v[20:23], v217 offset:6912                    // 00000000337C: D9FE1B00 140000D9
	ds_read_b128 v[24:27], v217 offset:6976                    // 000000003384: D9FE1B40 180000D9
	s_waitcnt lgkmcnt(0)                                       // 00000000338C: BF8CC07F
	s_cmp_lt_i32 s57, 2                                        // 000000003390: BF048239
	s_cbranch_scc0 label_0962                                  // 000000003394: BF8405FC

0000000000003398 <label_0366>:
	s_cmp_lt_i32 s64, s63                                      // 000000003398: BF043F40
	s_cbranch_scc0 label_0F5E                                  // 00000000339C: BF840BF6
	s_waitcnt vmcnt(10)                                        // 0000000033A0: BF8C0F7A
	s_lshl_b32 s68, s76, 2                                     // 0000000033A4: 8E44824C
	s_cmp_lt_u32 s76, s77                                      // 0000000033A8: BF0A4D4C
	s_cselect_b32 s68, s68, 0                                  // 0000000033AC: 85448044
	s_addk_i32 s76, 0x1                                        // 0000000033B0: B74C0001
	s_load_dword s59, s[42:43], s68                            // 0000000033B4: C0000ED5 00000044
	s_waitcnt lgkmcnt(0)                                       // 0000000033BC: BF8CC07F
	s_mul_i32 s69, s59, s50                                    // 0000000033C0: 9245323B
	s_mul_i32 s71, s59, s66                                    // 0000000033C4: 9247423B
	s_mul_i32 s54, s78, s51                                    // 0000000033C8: 9236334E
	s_add_u32 s69, s69, s54                                    // 0000000033CC: 80453645
	s_mov_b32 s70, s69                                         // 0000000033D0: BEC60045
	s_mul_i32 s54, s78, 4                                      // 0000000033D4: 9236844E
	s_add_u32 s71, s71, s54                                    // 0000000033D8: 80473647
	s_add_u32 s12, s86, s69                                    // 0000000033DC: 800C4556
	s_addc_u32 s13, s87, 0                                     // 0000000033E0: 820D8057
	s_add_u32 s16, s88, s70                                    // 0000000033E4: 80104658
	s_addc_u32 s17, s89, 0                                     // 0000000033E8: 82118059
	s_add_u32 s20, s90, s71                                    // 0000000033EC: 8014475A
	s_addc_u32 s21, s91, 0                                     // 0000000033F0: 8215805B
	s_add_u32 s24, s92, s71                                    // 0000000033F4: 8018475C
	s_addc_u32 s25, s93, 0                                     // 0000000033F8: 8219805D
	v_mfma_f32_16x16x32_fp8_fp8 v[28:31], a[0:1], v[12:13], 0  // 0000000033FC: D3F3001C 0A021900
	v_mfma_f32_16x16x32_fp8_fp8 v[28:31], a[2:3], v[14:15], v[28:31]// 000000003404: D3F3001C 0C721D02
	v_mfma_f32_16x16x32_fp8_fp8 v[28:31], a[4:5], v[16:17], v[28:31]// 00000000340C: D3F3001C 0C722104
	buffer_load_dwordx4 a[32:35], v202, s[12:15], 0 offen      // 000000003414: E05C1000 808320CA
	v_mfma_f32_16x16x32_fp8_fp8 v[28:31], a[6:7], v[18:19], v[28:31]// 00000000341C: D3F3001C 0C722506
	v_mfma_f32_16x16x32_fp8_fp8 v[32:35], a[8:9], v[12:13], 0  // 000000003424: D3F30020 0A021908
	v_mfma_f32_16x16x32_fp8_fp8 v[32:35], a[10:11], v[14:15], v[32:35]// 00000000342C: D3F30020 0C821D0A
	v_mfma_f32_16x16x32_fp8_fp8 v[32:35], a[12:13], v[16:17], v[32:35]// 000000003434: D3F30020 0C82210C
	buffer_load_dwordx4 a[36:39], v203, s[12:15], 0 offen      // 00000000343C: E05C1000 808324CB
	v_mfma_f32_16x16x32_fp8_fp8 v[32:35], a[14:15], v[18:19], v[32:35]// 000000003444: D3F30020 0C82250E
	v_mfma_f32_16x16x32_fp8_fp8 v[36:39], a[16:17], v[12:13], 0// 00000000344C: D3F30024 0A021910
	v_mfma_f32_16x16x32_fp8_fp8 v[36:39], a[18:19], v[14:15], v[36:39]// 000000003454: D3F30024 0C921D12
	v_mfma_f32_16x16x32_fp8_fp8 v[36:39], a[20:21], v[16:17], v[36:39]// 00000000345C: D3F30024 0C922114
	buffer_load_dwordx4 a[40:43], v202, s[12:15], 0 offen offset:1024// 000000003464: E05C1400 808328CA
	v_mfma_f32_16x16x32_fp8_fp8 v[36:39], a[22:23], v[18:19], v[36:39]// 00000000346C: D3F30024 0C922516
	v_mfma_f32_16x16x32_fp8_fp8 v[40:43], a[24:25], v[12:13], 0// 000000003474: D3F30028 0A021918
	v_mfma_f32_16x16x32_fp8_fp8 v[40:43], a[26:27], v[14:15], v[40:43]// 00000000347C: D3F30028 0CA21D1A
	v_mfma_f32_16x16x32_fp8_fp8 v[40:43], a[28:29], v[16:17], v[40:43]// 000000003484: D3F30028 0CA2211C
	buffer_load_dwordx4 a[44:47], v203, s[12:15], 0 offen offset:1024// 00000000348C: E05C1400 80832CCB
	v_mfma_f32_16x16x32_fp8_fp8 v[40:43], a[30:31], v[18:19], v[40:43]// 000000003494: D3F30028 0CA2251E
	v_mfma_f32_16x16x32_fp8_fp8 v[44:47], a[0:1], v[20:21], 0  // 00000000349C: D3F3002C 0A022900
	v_mfma_f32_16x16x32_fp8_fp8 v[44:47], a[2:3], v[22:23], v[44:47]// 0000000034A4: D3F3002C 0CB22D02
	v_mfma_f32_16x16x32_fp8_fp8 v[44:47], a[4:5], v[24:25], v[44:47]// 0000000034AC: D3F3002C 0CB23104
	buffer_load_dwordx4 a[48:51], v202, s[12:15], 0 offen offset:2048// 0000000034B4: E05C1800 808330CA
	v_mfma_f32_16x16x32_fp8_fp8 v[44:47], a[6:7], v[26:27], v[44:47]// 0000000034BC: D3F3002C 0CB23506
	v_mfma_f32_16x16x32_fp8_fp8 v[48:51], a[8:9], v[20:21], 0  // 0000000034C4: D3F30030 0A022908
	v_mfma_f32_16x16x32_fp8_fp8 v[48:51], a[10:11], v[22:23], v[48:51]// 0000000034CC: D3F30030 0CC22D0A
	v_mfma_f32_16x16x32_fp8_fp8 v[48:51], a[12:13], v[24:25], v[48:51]// 0000000034D4: D3F30030 0CC2310C
	buffer_load_dwordx4 a[52:55], v203, s[12:15], 0 offen offset:2048// 0000000034DC: E05C1800 808334CB
	v_mfma_f32_16x16x32_fp8_fp8 v[48:51], a[14:15], v[26:27], v[48:51]// 0000000034E4: D3F30030 0CC2350E
	v_mfma_f32_16x16x32_fp8_fp8 v[52:55], a[16:17], v[20:21], 0// 0000000034EC: D3F30034 0A022910
	v_mfma_f32_16x16x32_fp8_fp8 v[52:55], a[18:19], v[22:23], v[52:55]// 0000000034F4: D3F30034 0CD22D12
	v_mfma_f32_16x16x32_fp8_fp8 v[52:55], a[20:21], v[24:25], v[52:55]// 0000000034FC: D3F30034 0CD23114
	buffer_load_dwordx4 a[56:59], v202, s[12:15], 0 offen offset:3072// 000000003504: E05C1C00 808338CA
	v_mfma_f32_16x16x32_fp8_fp8 v[52:55], a[22:23], v[26:27], v[52:55]// 00000000350C: D3F30034 0CD23516
	v_mfma_f32_16x16x32_fp8_fp8 v[56:59], a[24:25], v[20:21], 0// 000000003514: D3F30038 0A022918
	v_mfma_f32_16x16x32_fp8_fp8 v[56:59], a[26:27], v[22:23], v[56:59]// 00000000351C: D3F30038 0CE22D1A
	v_mfma_f32_16x16x32_fp8_fp8 v[56:59], a[28:29], v[24:25], v[56:59]// 000000003524: D3F30038 0CE2311C
	buffer_load_dwordx4 a[60:63], v203, s[12:15], 0 offen offset:3072// 00000000352C: E05C1C00 80833CCB
	v_mfma_f32_16x16x32_fp8_fp8 v[56:59], a[30:31], v[26:27], v[56:59]// 000000003534: D3F30038 0CE2351E
	s_waitcnt vmcnt(16)                                        // 00000000353C: BF8C4F70
	v_pk_mul_f32 v[28:29], v[124:125], v[28:29]                // 000000003540: D3B1401C 1802397C
	v_pk_mul_f32 v[30:31], v[124:125], v[30:31]                // 000000003548: D3B1401E 18023D7C
	v_mul_f32_dpp v28, v128, v28 row_newbcast:0 row_mask:0xf bank_mask:0xf// 000000003550: 0A3838FA FF015080
	v_mul_f32_dpp v29, v128, v29 row_newbcast:1 row_mask:0xf bank_mask:0xf// 000000003558: 0A3A3AFA FF015180
	v_mul_f32_dpp v30, v128, v30 row_newbcast:2 row_mask:0xf bank_mask:0xf// 000000003560: 0A3C3CFA FF015280
	v_mul_f32_dpp v31, v128, v31 row_newbcast:3 row_mask:0xf bank_mask:0xf// 000000003568: 0A3E3EFA FF015380
	v_pk_mul_f32 v[32:33], v[124:125], v[32:33]                // 000000003570: D3B14020 1802417C
	v_pk_mul_f32 v[34:35], v[124:125], v[34:35]                // 000000003578: D3B14022 1802457C
	v_mul_f32_dpp v32, v128, v32 row_newbcast:4 row_mask:0xf bank_mask:0xf// 000000003580: 0A4040FA FF015480
	v_mul_f32_dpp v33, v128, v33 row_newbcast:5 row_mask:0xf bank_mask:0xf// 000000003588: 0A4242FA FF015580
	v_mul_f32_dpp v34, v128, v34 row_newbcast:6 row_mask:0xf bank_mask:0xf// 000000003590: 0A4444FA FF015680
	v_mul_f32_dpp v35, v128, v35 row_newbcast:7 row_mask:0xf bank_mask:0xf// 000000003598: 0A4646FA FF015780
	v_pk_mul_f32 v[36:37], v[124:125], v[36:37]                // 0000000035A0: D3B14024 1802497C
	v_pk_mul_f32 v[38:39], v[124:125], v[38:39]                // 0000000035A8: D3B14026 18024D7C
	v_mul_f32_dpp v36, v128, v36 row_newbcast:8 row_mask:0xf bank_mask:0xf// 0000000035B0: 0A4848FA FF015880
	v_mul_f32_dpp v37, v128, v37 row_newbcast:9 row_mask:0xf bank_mask:0xf// 0000000035B8: 0A4A4AFA FF015980
	v_mul_f32_dpp v38, v128, v38 row_newbcast:10 row_mask:0xf bank_mask:0xf// 0000000035C0: 0A4C4CFA FF015A80
	v_mul_f32_dpp v39, v128, v39 row_newbcast:11 row_mask:0xf bank_mask:0xf// 0000000035C8: 0A4E4EFA FF015B80
	v_pk_mul_f32 v[40:41], v[124:125], v[40:41]                // 0000000035D0: D3B14028 1802517C
	v_pk_mul_f32 v[42:43], v[124:125], v[42:43]                // 0000000035D8: D3B1402A 1802557C
	v_mul_f32_dpp v40, v128, v40 row_newbcast:12 row_mask:0xf bank_mask:0xf// 0000000035E0: 0A5050FA FF015C80
	v_mul_f32_dpp v41, v128, v41 row_newbcast:13 row_mask:0xf bank_mask:0xf// 0000000035E8: 0A5252FA FF015D80
	v_mul_f32_dpp v42, v128, v42 row_newbcast:14 row_mask:0xf bank_mask:0xf// 0000000035F0: 0A5454FA FF015E80
	v_mul_f32_dpp v43, v128, v43 row_newbcast:15 row_mask:0xf bank_mask:0xf// 0000000035F8: 0A5656FA FF015F80
	v_pk_mul_f32 v[44:45], v[126:127], v[44:45]                // 000000003600: D3B1402C 1802597E
	v_pk_mul_f32 v[46:47], v[126:127], v[46:47]                // 000000003608: D3B1402E 18025D7E
	v_mul_f32_dpp v44, v128, v44 row_newbcast:0 row_mask:0xf bank_mask:0xf// 000000003610: 0A5858FA FF015080
	v_mul_f32_dpp v45, v128, v45 row_newbcast:1 row_mask:0xf bank_mask:0xf// 000000003618: 0A5A5AFA FF015180
	v_mul_f32_dpp v46, v128, v46 row_newbcast:2 row_mask:0xf bank_mask:0xf// 000000003620: 0A5C5CFA FF015280
	v_mul_f32_dpp v47, v128, v47 row_newbcast:3 row_mask:0xf bank_mask:0xf// 000000003628: 0A5E5EFA FF015380
	v_pk_mul_f32 v[48:49], v[126:127], v[48:49]                // 000000003630: D3B14030 1802617E
	v_pk_mul_f32 v[50:51], v[126:127], v[50:51]                // 000000003638: D3B14032 1802657E
	v_mul_f32_dpp v48, v128, v48 row_newbcast:4 row_mask:0xf bank_mask:0xf// 000000003640: 0A6060FA FF015480
	v_mul_f32_dpp v49, v128, v49 row_newbcast:5 row_mask:0xf bank_mask:0xf// 000000003648: 0A6262FA FF015580
	v_mul_f32_dpp v50, v128, v50 row_newbcast:6 row_mask:0xf bank_mask:0xf// 000000003650: 0A6464FA FF015680
	v_mul_f32_dpp v51, v128, v51 row_newbcast:7 row_mask:0xf bank_mask:0xf// 000000003658: 0A6666FA FF015780
	v_pk_mul_f32 v[52:53], v[126:127], v[52:53]                // 000000003660: D3B14034 1802697E
	v_pk_mul_f32 v[54:55], v[126:127], v[54:55]                // 000000003668: D3B14036 18026D7E
	v_mul_f32_dpp v52, v128, v52 row_newbcast:8 row_mask:0xf bank_mask:0xf// 000000003670: 0A6868FA FF015880
	v_mul_f32_dpp v53, v128, v53 row_newbcast:9 row_mask:0xf bank_mask:0xf// 000000003678: 0A6A6AFA FF015980
	v_mul_f32_dpp v54, v128, v54 row_newbcast:10 row_mask:0xf bank_mask:0xf// 000000003680: 0A6C6CFA FF015A80
	v_mul_f32_dpp v55, v128, v55 row_newbcast:11 row_mask:0xf bank_mask:0xf// 000000003688: 0A6E6EFA FF015B80
	v_pk_mul_f32 v[56:57], v[126:127], v[56:57]                // 000000003690: D3B14038 1802717E
	v_pk_mul_f32 v[58:59], v[126:127], v[58:59]                // 000000003698: D3B1403A 1802757E
	v_mul_f32_dpp v56, v128, v56 row_newbcast:12 row_mask:0xf bank_mask:0xf// 0000000036A0: 0A7070FA FF015C80
	v_mul_f32_dpp v57, v128, v57 row_newbcast:13 row_mask:0xf bank_mask:0xf// 0000000036A8: 0A7272FA FF015D80
	v_mul_f32_dpp v58, v128, v58 row_newbcast:14 row_mask:0xf bank_mask:0xf// 0000000036B0: 0A7474FA FF015E80
	v_mul_f32_dpp v59, v128, v59 row_newbcast:15 row_mask:0xf bank_mask:0xf// 0000000036B8: 0A7676FA FF015F80
	v_mov_b32_e32 v150, v28                                    // 0000000036C0: 7F2C031C
	v_max3_f32 v150, v28, v29, v150                            // 0000000036C4: D1D30096 065A3B1C
	v_max3_f32 v150, v30, v31, v150                            // 0000000036CC: D1D30096 065A3F1E
	v_max3_f32 v150, v32, v33, v150                            // 0000000036D4: D1D30096 065A4320
	v_max3_f32 v150, v34, v35, v150                            // 0000000036DC: D1D30096 065A4722
	v_max3_f32 v150, v36, v37, v150                            // 0000000036E4: D1D30096 065A4B24
	v_max3_f32 v150, v38, v39, v150                            // 0000000036EC: D1D30096 065A4F26
	v_max3_f32 v150, v40, v41, v150                            // 0000000036F4: D1D30096 065A5328
	v_max3_f32 v150, v42, v43, v150                            // 0000000036FC: D1D30096 065A572A
	v_mov_b32_e32 v151, v44                                    // 000000003704: 7F2E032C
	v_max3_f32 v151, v44, v45, v151                            // 000000003708: D1D30097 065E5B2C
	v_max3_f32 v151, v46, v47, v151                            // 000000003710: D1D30097 065E5F2E
	v_max3_f32 v151, v48, v49, v151                            // 000000003718: D1D30097 065E6330
	v_max3_f32 v151, v50, v51, v151                            // 000000003720: D1D30097 065E6732
	v_max3_f32 v151, v52, v53, v151                            // 000000003728: D1D30097 065E6B34
	v_max3_f32 v151, v54, v55, v151                            // 000000003730: D1D30097 065E6F36
	v_max3_f32 v151, v56, v57, v151                            // 000000003738: D1D30097 065E7338
	v_max3_f32 v151, v58, v59, v151                            // 000000003740: D1D30097 065E773A
	ds_write_b64 v220, v[150:151]                              // 000000003748: D89A0000 000096DC
	v_pk_mul_f32 v[108:109], v[142:143], v[108:109]            // 000000003750: D3B1406C 1802D98E
	v_pk_mul_f32 v[110:111], v[142:143], v[110:111]            // 000000003758: D3B1406E 1802DD8E
	v_pk_mul_f32 v[112:113], v[142:143], v[112:113]            // 000000003760: D3B14070 1802E18E
	v_pk_mul_f32 v[114:115], v[142:143], v[114:115]            // 000000003768: D3B14072 1802E58E
	v_pk_mul_f32 v[116:117], v[144:145], v[116:117]            // 000000003770: D3B14074 1802E990
	v_pk_mul_f32 v[118:119], v[144:145], v[118:119]            // 000000003778: D3B14076 1802ED90
	v_pk_mul_f32 v[120:121], v[144:145], v[120:121]            // 000000003780: D3B14078 1802F190
	v_pk_mul_f32 v[122:123], v[144:145], v[122:123]            // 000000003788: D3B1407A 1802F590
	s_waitcnt lgkmcnt(0)                                       // 000000003790: BF8CC07F
	s_barrier                                                  // 000000003794: BF8A0000
	ds_read_b64 v[154:155], v221                               // 000000003798: D8EC0000 9A0000DD
	ds_read_b64 v[156:157], v221 offset:128                    // 0000000037A0: D8EC0080 9C0000DD
	ds_read_b64 v[158:159], v221 offset:256                    // 0000000037A8: D8EC0100 9E0000DD
	ds_read_b64 v[160:161], v221 offset:384                    // 0000000037B0: D8EC0180 A00000DD
	ds_read_b64 v[162:163], v221 offset:512                    // 0000000037B8: D8EC0200 A20000DD
	ds_read_b64 v[164:165], v221 offset:640                    // 0000000037C0: D8EC0280 A40000DD
	ds_read_b64 v[166:167], v221 offset:768                    // 0000000037C8: D8EC0300 A60000DD
	ds_read_b64 v[168:169], v221 offset:896                    // 0000000037D0: D8EC0380 A80000DD
	ds_read_b64 v[170:171], v221 offset:1024                   // 0000000037D8: D8EC0400 AA0000DD
	ds_read_b64 v[172:173], v221 offset:1152                   // 0000000037E0: D8EC0480 AC0000DD
	ds_read_b64 v[174:175], v221 offset:1280                   // 0000000037E8: D8EC0500 AE0000DD
	ds_read_b64 v[176:177], v221 offset:1408                   // 0000000037F0: D8EC0580 B00000DD
	ds_read_b64 v[178:179], v221 offset:1536                   // 0000000037F8: D8EC0600 B20000DD
	ds_read_b64 v[180:181], v221 offset:1664                   // 000000003800: D8EC0680 B40000DD
	ds_read_b64 v[182:183], v221 offset:1792                   // 000000003808: D8EC0700 B60000DD
	ds_read_b64 v[184:185], v221 offset:1920                   // 000000003810: D8EC0780 B80000DD
	v_pk_mul_f32 v[92:93], v[132:133], v[92:93]                // 000000003818: D3B1405C 1802B984
	v_pk_mul_f32 v[94:95], v[132:133], v[94:95]                // 000000003820: D3B1405E 1802BD84
	v_pk_mul_f32 v[96:97], v[132:133], v[96:97]                // 000000003828: D3B14060 1802C184
	v_pk_mul_f32 v[98:99], v[132:133], v[98:99]                // 000000003830: D3B14062 1802C584
	v_pk_mul_f32 v[100:101], v[134:135], v[100:101]            // 000000003838: D3B14064 1802C986
	v_pk_mul_f32 v[102:103], v[134:135], v[102:103]            // 000000003840: D3B14066 1802CD86
	v_pk_mul_f32 v[104:105], v[134:135], v[104:105]            // 000000003848: D3B14068 1802D186
	v_pk_mul_f32 v[106:107], v[134:135], v[106:107]            // 000000003850: D3B1406A 1802D586
	s_waitcnt lgkmcnt(0)                                       // 000000003858: BF8CC07F
	v_max3_f32 v150, v154, v156, v150                          // 00000000385C: D1D30096 065B399A
	v_max3_f32 v151, v155, v157, v151                          // 000000003864: D1D30097 065F3B9B
	v_max3_f32 v150, v158, v160, v150                          // 00000000386C: D1D30096 065B419E
	v_max3_f32 v151, v159, v161, v151                          // 000000003874: D1D30097 065F439F
	v_max3_f32 v150, v162, v164, v150                          // 00000000387C: D1D30096 065B49A2
	v_max3_f32 v151, v163, v165, v151                          // 000000003884: D1D30097 065F4BA3
	v_max3_f32 v150, v166, v168, v150                          // 00000000388C: D1D30096 065B51A6
	v_max3_f32 v151, v167, v169, v151                          // 000000003894: D1D30097 065F53A7
	v_max3_f32 v150, v170, v172, v150                          // 00000000389C: D1D30096 065B59AA
	v_max3_f32 v151, v171, v173, v151                          // 0000000038A4: D1D30097 065F5BAB
	v_max3_f32 v150, v174, v176, v150                          // 0000000038AC: D1D30096 065B61AE
	v_max3_f32 v151, v175, v177, v151                          // 0000000038B4: D1D30097 065F63AF
	v_max3_f32 v150, v178, v180, v150                          // 0000000038BC: D1D30096 065B69B2
	v_max3_f32 v151, v179, v181, v151                          // 0000000038C4: D1D30097 065F6BB3
	v_max3_f32 v150, v182, v184, v150                          // 0000000038CC: D1D30096 065B71B6
	v_max3_f32 v151, v183, v185, v151                          // 0000000038D4: D1D30097 065F73B7
	v_max_f32_e32 v140, v150, v138                             // 0000000038DC: 17191596
	v_mul_f32_e64 v186, -s46, v140                             // 0000000038E0: D10500BA 2003182E
	v_mov_b32_e32 v187, v186                                   // 0000000038E8: 7F7603BA
	v_pk_fma_f32 v[28:29], v[28:29], s[46:47], v[186:187]      // 0000000038EC: D3B0401C 1EE85D1C
	v_pk_fma_f32 v[30:31], v[30:31], s[46:47], v[186:187]      // 0000000038F4: D3B0401E 1EE85D1E
	v_exp_f32_e32 v28, v28                                     // 0000000038FC: 7E38411C
	v_exp_f32_e32 v29, v29                                     // 000000003900: 7E3A411D
	v_exp_f32_e32 v30, v30                                     // 000000003904: 7E3C411E
	v_exp_f32_e32 v31, v31                                     // 000000003908: 7E3E411F
	v_pk_fma_f32 v[32:33], v[32:33], s[46:47], v[186:187]      // 00000000390C: D3B04020 1EE85D20
	v_pk_fma_f32 v[34:35], v[34:35], s[46:47], v[186:187]      // 000000003914: D3B04022 1EE85D22
	v_exp_f32_e32 v32, v32                                     // 00000000391C: 7E404120
	v_exp_f32_e32 v33, v33                                     // 000000003920: 7E424121
	v_exp_f32_e32 v34, v34                                     // 000000003924: 7E444122
	v_exp_f32_e32 v35, v35                                     // 000000003928: 7E464123
	v_pk_fma_f32 v[36:37], v[36:37], s[46:47], v[186:187]      // 00000000392C: D3B04024 1EE85D24
	v_pk_fma_f32 v[38:39], v[38:39], s[46:47], v[186:187]      // 000000003934: D3B04026 1EE85D26
	v_exp_f32_e32 v36, v36                                     // 00000000393C: 7E484124
	v_exp_f32_e32 v37, v37                                     // 000000003940: 7E4A4125
	v_exp_f32_e32 v38, v38                                     // 000000003944: 7E4C4126
	v_exp_f32_e32 v39, v39                                     // 000000003948: 7E4E4127
	v_pk_fma_f32 v[40:41], v[40:41], s[46:47], v[186:187]      // 00000000394C: D3B04028 1EE85D28
	v_pk_fma_f32 v[42:43], v[42:43], s[46:47], v[186:187]      // 000000003954: D3B0402A 1EE85D2A
	v_exp_f32_e32 v40, v40                                     // 00000000395C: 7E504128
	v_exp_f32_e32 v41, v41                                     // 000000003960: 7E524129
	v_exp_f32_e32 v42, v42                                     // 000000003964: 7E54412A
	v_exp_f32_e32 v43, v43                                     // 000000003968: 7E56412B
	v_max_f32_e32 v141, v151, v139                             // 00000000396C: 171B1797
	v_mul_f32_e64 v186, -s46, v141                             // 000000003970: D10500BA 20031A2E
	v_mov_b32_e32 v187, v186                                   // 000000003978: 7F7603BA
	v_pk_fma_f32 v[44:45], v[44:45], s[46:47], v[186:187]      // 00000000397C: D3B0402C 1EE85D2C
	v_pk_fma_f32 v[46:47], v[46:47], s[46:47], v[186:187]      // 000000003984: D3B0402E 1EE85D2E
	v_exp_f32_e32 v44, v44                                     // 00000000398C: 7E58412C
	v_exp_f32_e32 v45, v45                                     // 000000003990: 7E5A412D
	v_exp_f32_e32 v46, v46                                     // 000000003994: 7E5C412E
	v_exp_f32_e32 v47, v47                                     // 000000003998: 7E5E412F
	v_pk_fma_f32 v[48:49], v[48:49], s[46:47], v[186:187]      // 00000000399C: D3B04030 1EE85D30
	v_pk_fma_f32 v[50:51], v[50:51], s[46:47], v[186:187]      // 0000000039A4: D3B04032 1EE85D32
	v_exp_f32_e32 v48, v48                                     // 0000000039AC: 7E604130
	v_exp_f32_e32 v49, v49                                     // 0000000039B0: 7E624131
	v_exp_f32_e32 v50, v50                                     // 0000000039B4: 7E644132
	v_exp_f32_e32 v51, v51                                     // 0000000039B8: 7E664133
	v_pk_fma_f32 v[52:53], v[52:53], s[46:47], v[186:187]      // 0000000039BC: D3B04034 1EE85D34
	v_pk_fma_f32 v[54:55], v[54:55], s[46:47], v[186:187]      // 0000000039C4: D3B04036 1EE85D36
	v_exp_f32_e32 v52, v52                                     // 0000000039CC: 7E684134
	v_exp_f32_e32 v53, v53                                     // 0000000039D0: 7E6A4135
	v_exp_f32_e32 v54, v54                                     // 0000000039D4: 7E6C4136
	v_exp_f32_e32 v55, v55                                     // 0000000039D8: 7E6E4137
	v_pk_fma_f32 v[56:57], v[56:57], s[46:47], v[186:187]      // 0000000039DC: D3B04038 1EE85D38
	v_pk_fma_f32 v[58:59], v[58:59], s[46:47], v[186:187]      // 0000000039E4: D3B0403A 1EE85D3A
	v_exp_f32_e32 v56, v56                                     // 0000000039EC: 7E704138
	v_exp_f32_e32 v57, v57                                     // 0000000039F0: 7E724139
	v_exp_f32_e32 v58, v58                                     // 0000000039F4: 7E74413A
	v_exp_f32_e32 v59, v59                                     // 0000000039F8: 7E76413B
	v_mul_f32_dpp v60, v130, v28 row_newbcast:0 row_mask:0xf bank_mask:0xf// 0000000039FC: 0A7838FA FF015082
	v_mul_f32_dpp v61, v130, v29 row_newbcast:1 row_mask:0xf bank_mask:0xf// 000000003A04: 0A7A3AFA FF015182
	v_mul_f32_dpp v62, v130, v30 row_newbcast:2 row_mask:0xf bank_mask:0xf// 000000003A0C: 0A7C3CFA FF015282
	v_mul_f32_dpp v63, v130, v31 row_newbcast:3 row_mask:0xf bank_mask:0xf// 000000003A14: 0A7E3EFA FF015382
	v_mul_f32_dpp v64, v130, v32 row_newbcast:4 row_mask:0xf bank_mask:0xf// 000000003A1C: 0A8040FA FF015482
	v_mul_f32_dpp v65, v130, v33 row_newbcast:5 row_mask:0xf bank_mask:0xf// 000000003A24: 0A8242FA FF015582
	v_mul_f32_dpp v66, v130, v34 row_newbcast:6 row_mask:0xf bank_mask:0xf// 000000003A2C: 0A8444FA FF015682
	v_mul_f32_dpp v67, v130, v35 row_newbcast:7 row_mask:0xf bank_mask:0xf// 000000003A34: 0A8646FA FF015782
	v_mul_f32_dpp v68, v130, v36 row_newbcast:8 row_mask:0xf bank_mask:0xf// 000000003A3C: 0A8848FA FF015882
	v_mul_f32_dpp v69, v130, v37 row_newbcast:9 row_mask:0xf bank_mask:0xf// 000000003A44: 0A8A4AFA FF015982
	v_mul_f32_dpp v70, v130, v38 row_newbcast:10 row_mask:0xf bank_mask:0xf// 000000003A4C: 0A8C4CFA FF015A82
	v_mul_f32_dpp v71, v130, v39 row_newbcast:11 row_mask:0xf bank_mask:0xf// 000000003A54: 0A8E4EFA FF015B82
	v_mul_f32_dpp v72, v130, v40 row_newbcast:12 row_mask:0xf bank_mask:0xf// 000000003A5C: 0A9050FA FF015C82
	v_mul_f32_dpp v73, v130, v41 row_newbcast:13 row_mask:0xf bank_mask:0xf// 000000003A64: 0A9252FA FF015D82
	v_mul_f32_dpp v74, v130, v42 row_newbcast:14 row_mask:0xf bank_mask:0xf// 000000003A6C: 0A9454FA FF015E82
	v_mul_f32_dpp v75, v130, v43 row_newbcast:15 row_mask:0xf bank_mask:0xf// 000000003A74: 0A9656FA FF015F82
	v_mul_f32_dpp v76, v130, v44 row_newbcast:0 row_mask:0xf bank_mask:0xf// 000000003A7C: 0A9858FA FF015082
	v_mul_f32_dpp v77, v130, v45 row_newbcast:1 row_mask:0xf bank_mask:0xf// 000000003A84: 0A9A5AFA FF015182
	v_mul_f32_dpp v78, v130, v46 row_newbcast:2 row_mask:0xf bank_mask:0xf// 000000003A8C: 0A9C5CFA FF015282
	v_mul_f32_dpp v79, v130, v47 row_newbcast:3 row_mask:0xf bank_mask:0xf// 000000003A94: 0A9E5EFA FF015382
	v_mul_f32_dpp v80, v130, v48 row_newbcast:4 row_mask:0xf bank_mask:0xf// 000000003A9C: 0AA060FA FF015482
	v_mul_f32_dpp v81, v130, v49 row_newbcast:5 row_mask:0xf bank_mask:0xf// 000000003AA4: 0AA262FA FF015582
	v_mul_f32_dpp v82, v130, v50 row_newbcast:6 row_mask:0xf bank_mask:0xf// 000000003AAC: 0AA464FA FF015682
	v_mul_f32_dpp v83, v130, v51 row_newbcast:7 row_mask:0xf bank_mask:0xf// 000000003AB4: 0AA666FA FF015782
	v_mul_f32_dpp v84, v130, v52 row_newbcast:8 row_mask:0xf bank_mask:0xf// 000000003ABC: 0AA868FA FF015882
	v_mul_f32_dpp v85, v130, v53 row_newbcast:9 row_mask:0xf bank_mask:0xf// 000000003AC4: 0AAA6AFA FF015982
	v_mul_f32_dpp v86, v130, v54 row_newbcast:10 row_mask:0xf bank_mask:0xf// 000000003ACC: 0AAC6CFA FF015A82
	v_mul_f32_dpp v87, v130, v55 row_newbcast:11 row_mask:0xf bank_mask:0xf// 000000003AD4: 0AAE6EFA FF015B82
	v_mul_f32_dpp v88, v130, v56 row_newbcast:12 row_mask:0xf bank_mask:0xf// 000000003ADC: 0AB070FA FF015C82
	v_mul_f32_dpp v89, v130, v57 row_newbcast:13 row_mask:0xf bank_mask:0xf// 000000003AE4: 0AB272FA FF015D82
	v_mul_f32_dpp v90, v130, v58 row_newbcast:14 row_mask:0xf bank_mask:0xf// 000000003AEC: 0AB474FA FF015E82
	v_mul_f32_dpp v91, v130, v59 row_newbcast:15 row_mask:0xf bank_mask:0xf// 000000003AF4: 0AB676FA FF015F82
	buffer_load_dword v129, v208, s[20:23], 0 offen            // 000000003AFC: E0501000 800581D0
	v_sub_f32_e32 v142, v138, v140                             // 000000003B04: 051D198A
	v_cmp_eq_u32_e64 s[98:99], v197, v138                      // 000000003B08: D0CA0062 000315C5
	v_cndmask_b32_e64 v142, v142, 0, s[98:99]                  // 000000003B10: D100008E 0189018E
	v_mov_b32_e32 v138, v140                                   // 000000003B18: 7F14038C
	v_mul_f32_e32 v142, s46, v142                              // 000000003B1C: 0B1D1C2E
	v_exp_f32_e32 v142, v142                                   // 000000003B20: 7F1C418E
	v_sub_f32_e32 v144, v139, v141                             // 000000003B24: 05211B8B
	v_cmp_eq_u32_e64 s[98:99], v197, v139                      // 000000003B28: D0CA0062 000317C5
	v_cndmask_b32_e64 v144, v144, 0, s[98:99]                  // 000000003B30: D1000090 01890190
	v_mov_b32_e32 v139, v141                                   // 000000003B38: 7F16038D
	v_mul_f32_e32 v144, s46, v144                              // 000000003B3C: 0B21202E
	v_exp_f32_e32 v144, v144                                   // 000000003B40: 7F204190
	v_mov_b32_e32 v143, v142                                   // 000000003B44: 7F1E038E
	v_mov_b32_e32 v145, v144                                   // 000000003B48: 7F220390
	buffer_load_dword v131, v209, s[24:27], 0 offen            // 000000003B4C: E0501000 800683D1
	s_waitcnt lgkmcnt(0)                                       // 000000003B54: BF8CC07F
	s_barrier                                                  // 000000003B58: BF8A0000
	v_mul_f32_e32 v146, v142, v146                             // 000000003B5C: 0B25258E
	v_mov_b32_e32 v147, 0                                      // 000000003B60: 7F260280
	v_pk_add_f32 v[146:147], v[28:29], v[146:147]              // 000000003B64: D3B24092 1803251C
	v_pk_add_f32 v[146:147], v[30:31], v[146:147]              // 000000003B6C: D3B24092 1803251E
	v_pk_add_f32 v[146:147], v[32:33], v[146:147]              // 000000003B74: D3B24092 18032520
	v_pk_add_f32 v[146:147], v[34:35], v[146:147]              // 000000003B7C: D3B24092 18032522
	v_pk_add_f32 v[146:147], v[36:37], v[146:147]              // 000000003B84: D3B24092 18032524
	v_pk_add_f32 v[146:147], v[38:39], v[146:147]              // 000000003B8C: D3B24092 18032526
	v_pk_add_f32 v[146:147], v[40:41], v[146:147]              // 000000003B94: D3B24092 18032528
	v_pk_add_f32 v[146:147], v[42:43], v[146:147]              // 000000003B9C: D3B24092 1803252A
	v_add_f32_e32 v146, v147, v146                             // 000000003BA4: 03252593
	v_mul_f32_e32 v148, v144, v148                             // 000000003BA8: 0B292990
	v_mov_b32_e32 v149, 0                                      // 000000003BAC: 7F2A0280
	v_pk_add_f32 v[148:149], v[44:45], v[148:149]              // 000000003BB0: D3B24094 1803292C
	v_pk_add_f32 v[148:149], v[46:47], v[148:149]              // 000000003BB8: D3B24094 1803292E
	v_pk_add_f32 v[148:149], v[48:49], v[148:149]              // 000000003BC0: D3B24094 18032930
	v_pk_add_f32 v[148:149], v[50:51], v[148:149]              // 000000003BC8: D3B24094 18032932
	v_pk_add_f32 v[148:149], v[52:53], v[148:149]              // 000000003BD0: D3B24094 18032934
	v_pk_add_f32 v[148:149], v[54:55], v[148:149]              // 000000003BD8: D3B24094 18032936
	v_pk_add_f32 v[148:149], v[56:57], v[148:149]              // 000000003BE0: D3B24094 18032938
	v_pk_add_f32 v[148:149], v[58:59], v[148:149]              // 000000003BE8: D3B24094 1803293A
	v_add_f32_e32 v148, v149, v148                             // 000000003BF0: 03292995
	s_waitcnt lgkmcnt(0)                                       // 000000003BF4: BF8CC07F
	v_sub_f32_e32 v150, v150, v138                             // 000000003BF8: 052D1596
	v_sub_f32_e32 v151, v151, v139                             // 000000003BFC: 052F1797
	v_mul_f32_e32 v150, s46, v150                              // 000000003C00: 0B2D2C2E
	v_mul_f32_e32 v151, s46, v151                              // 000000003C04: 0B2F2E2E
	v_exp_f32_e32 v150, v150                                   // 000000003C08: 7F2C4196
	v_exp_f32_e32 v151, v151                                   // 000000003C0C: 7F2E4197
	v_mul_f32_e32 v150, v130, v150                             // 000000003C10: 0B2D2D82
	v_mul_f32_e32 v151, v130, v151                             // 000000003C14: 0B2F2F82
	v_add_f32_e32 v150, 0x3089705f, v150                       // 000000003C18: 032D2CFF 3089705F
	v_add_f32_e32 v151, 0x3089705f, v151                       // 000000003C20: 032F2EFF 3089705F
	v_rcp_f32_e32 v150, v150                                   // 000000003C28: 7F2C4596
	v_rcp_f32_e32 v151, v151                                   // 000000003C2C: 7F2E4597
	v_mul_f32_e32 v150, 0x43700000, v150                       // 000000003C30: 0B2D2CFF 43700000
	v_mul_f32_e32 v151, 0x43700000, v151                       // 000000003C38: 0B2F2EFF 43700000
	v_mov_b32_e32 v152, v151                                   // 000000003C40: 7F300397
	v_mov_b32_e32 v153, v151                                   // 000000003C44: 7F320397
	v_mov_b32_e32 v151, v150                                   // 000000003C48: 7F2E0396
	v_pk_mul_f32 v[28:29], v[150:151], v[60:61]                // 000000003C4C: D3B1401C 18027996
	v_pk_mul_f32 v[30:31], v[150:151], v[62:63]                // 000000003C54: D3B1401E 18027D96
	v_pk_mul_f32 v[32:33], v[150:151], v[64:65]                // 000000003C5C: D3B14020 18028196
	v_pk_mul_f32 v[34:35], v[150:151], v[66:67]                // 000000003C64: D3B14022 18028596
	v_pk_mul_f32 v[36:37], v[150:151], v[68:69]                // 000000003C6C: D3B14024 18028996
	v_pk_mul_f32 v[38:39], v[150:151], v[70:71]                // 000000003C74: D3B14026 18028D96
	v_pk_mul_f32 v[40:41], v[150:151], v[72:73]                // 000000003C7C: D3B14028 18029196
	v_pk_mul_f32 v[42:43], v[150:151], v[74:75]                // 000000003C84: D3B1402A 18029596
	v_pk_mul_f32 v[44:45], v[152:153], v[76:77]                // 000000003C8C: D3B1402C 18029998
	v_pk_mul_f32 v[46:47], v[152:153], v[78:79]                // 000000003C94: D3B1402E 18029D98
	v_pk_mul_f32 v[48:49], v[152:153], v[80:81]                // 000000003C9C: D3B14030 1802A198
	v_pk_mul_f32 v[50:51], v[152:153], v[82:83]                // 000000003CA4: D3B14032 1802A598
	v_pk_mul_f32 v[52:53], v[152:153], v[84:85]                // 000000003CAC: D3B14034 1802A998
	v_pk_mul_f32 v[54:55], v[152:153], v[86:87]                // 000000003CB4: D3B14036 1802AD98
	v_pk_mul_f32 v[56:57], v[152:153], v[88:89]                // 000000003CBC: D3B14038 1802B198
	v_pk_mul_f32 v[58:59], v[152:153], v[90:91]                // 000000003CC4: D3B1403A 1802B598
	v_cvt_pk_fp8_f32 v28, v28, v29                             // 000000003CCC: D2A2001C 00023B1C
	v_cvt_pk_fp8_f32 v28, v30, v31 op_sel:[0,0,1]              // 000000003CD4: D2A2401C 00023F1E
	v_cvt_pk_fp8_f32 v29, v32, v33                             // 000000003CDC: D2A2001D 00024320
	v_cvt_pk_fp8_f32 v29, v34, v35 op_sel:[0,0,1]              // 000000003CE4: D2A2401D 00024722
	v_cvt_pk_fp8_f32 v30, v36, v37                             // 000000003CEC: D2A2001E 00024B24
	v_cvt_pk_fp8_f32 v30, v38, v39 op_sel:[0,0,1]              // 000000003CF4: D2A2401E 00024F26
	v_cvt_pk_fp8_f32 v31, v40, v41                             // 000000003CFC: D2A2001F 00025328
	v_cvt_pk_fp8_f32 v31, v42, v43 op_sel:[0,0,1]              // 000000003D04: D2A2401F 0002572A
	v_cvt_pk_fp8_f32 v32, v44, v45                             // 000000003D0C: D2A20020 00025B2C
	v_cvt_pk_fp8_f32 v32, v46, v47 op_sel:[0,0,1]              // 000000003D14: D2A24020 00025F2E
	v_cvt_pk_fp8_f32 v33, v48, v49                             // 000000003D1C: D2A20021 00026330
	v_cvt_pk_fp8_f32 v33, v50, v51 op_sel:[0,0,1]              // 000000003D24: D2A24021 00026732
	v_cvt_pk_fp8_f32 v34, v52, v53                             // 000000003D2C: D2A20022 00026B34
	v_cvt_pk_fp8_f32 v34, v54, v55 op_sel:[0,0,1]              // 000000003D34: D2A24022 00026F36
	v_cvt_pk_fp8_f32 v35, v56, v57                             // 000000003D3C: D2A20023 00027338
	v_cvt_pk_fp8_f32 v35, v58, v59 op_sel:[0,0,1]              // 000000003D44: D2A24023 0002773A
	ds_write_b32 v222, v28 offset:4608                         // 000000003D4C: D81A1200 00001CDE
	ds_write_b32 v222, v29 offset:5632                         // 000000003D54: D81A1600 00001DDE
	ds_write_b32 v222, v30 offset:6656                         // 000000003D5C: D81A1A00 00001EDE
	ds_write_b32 v222, v31 offset:7680                         // 000000003D64: D81A1E00 00001FDE
	ds_write_b32 v222, v32 offset:8704                         // 000000003D6C: D81A2200 000020DE
	ds_write_b32 v222, v33 offset:9728                         // 000000003D74: D81A2600 000021DE
	ds_write_b32 v222, v34 offset:10752                        // 000000003D7C: D81A2A00 000022DE
	ds_write_b32 v222, v35 offset:11776                        // 000000003D84: D81A2E00 000023DE
	v_rcp_f32_e32 v132, v150                                   // 000000003D8C: 7F084596
	v_rcp_f32_e32 v134, v152                                   // 000000003D90: 7F0C4598
	v_mov_b32_e32 v133, v132                                   // 000000003D94: 7F0A0384
	v_mov_b32_e32 v135, v134                                   // 000000003D98: 7F0E0386
	v_pk_add_f32 v[108:109], v[108:109], v[92:93]              // 000000003D9C: D3B2406C 1802B96C
	v_pk_add_f32 v[110:111], v[110:111], v[94:95]              // 000000003DA4: D3B2406E 1802BD6E
	v_pk_add_f32 v[112:113], v[112:113], v[96:97]              // 000000003DAC: D3B24070 1802C170
	v_pk_add_f32 v[114:115], v[114:115], v[98:99]              // 000000003DB4: D3B24072 1802C572
	v_pk_add_f32 v[116:117], v[116:117], v[100:101]            // 000000003DBC: D3B24074 1802C974
	v_pk_add_f32 v[118:119], v[118:119], v[102:103]            // 000000003DC4: D3B24076 1802CD76
	v_pk_add_f32 v[120:121], v[120:121], v[104:105]            // 000000003DCC: D3B24078 1802D178
	v_pk_add_f32 v[122:123], v[122:123], v[106:107]            // 000000003DD4: D3B2407A 1802D57A
	s_waitcnt lgkmcnt(0)                                       // 000000003DDC: BF8CC07F
	s_barrier                                                  // 000000003DE0: BF8A0000
	ds_read_b128 v[28:31], v223 offset:4608                    // 000000003DE4: D9FE1200 1C0000DF
	ds_read_b128 v[32:35], v223 offset:5632                    // 000000003DEC: D9FE1600 200000DF
	ds_read_b128 v[36:39], v223 offset:6656                    // 000000003DF4: D9FE1A00 240000DF
	ds_read_b128 v[40:43], v223 offset:7680                    // 000000003DFC: D9FE1E00 280000DF
	ds_read_b128 v[44:47], v223 offset:8704                    // 000000003E04: D9FE2200 2C0000DF
	ds_read_b128 v[48:51], v223 offset:9728                    // 000000003E0C: D9FE2600 300000DF
	ds_read_b128 v[52:55], v223 offset:10752                   // 000000003E14: D9FE2A00 340000DF
	ds_read_b128 v[56:59], v223 offset:11776                   // 000000003E1C: D9FE2E00 380000DF
	s_waitcnt vmcnt(10)                                        // 000000003E24: BF8C0F7A
	s_waitcnt lgkmcnt(7)                                       // 000000003E28: BF8CC77F
	v_mfma_f32_16x16x32_fp8_fp8 v[92:95], a[64:65], v[28:29], 0// 000000003E2C: D3F3005C 0A023940
	v_mfma_f32_16x16x32_fp8_fp8 v[96:99], a[80:81], v[28:29], 0// 000000003E34: D3F30060 0A023950
	v_mfma_f32_16x16x32_fp8_fp8 v[92:95], a[66:67], v[30:31], v[92:95]// 000000003E3C: D3F3005C 0D723D42
	buffer_load_dwordx4 a[96:99], v204, s[16:19], 0 offen      // 000000003E44: E05C1000 808460CC
	v_mfma_f32_16x16x32_fp8_fp8 v[96:99], a[82:83], v[30:31], v[96:99]// 000000003E4C: D3F30060 0D823D52
	s_waitcnt lgkmcnt(6)                                       // 000000003E54: BF8CC67F
	v_mfma_f32_16x16x32_fp8_fp8 v[92:95], a[68:69], v[32:33], v[92:95]// 000000003E58: D3F3005C 0D724144
	v_mfma_f32_16x16x32_fp8_fp8 v[96:99], a[84:85], v[32:33], v[96:99]// 000000003E60: D3F30060 0D824154
	v_mfma_f32_16x16x32_fp8_fp8 v[92:95], a[70:71], v[34:35], v[92:95]// 000000003E68: D3F3005C 0D724546
	buffer_load_dwordx4 a[100:103], v205, s[16:19], 0 offen    // 000000003E70: E05C1000 808464CD
	v_mfma_f32_16x16x32_fp8_fp8 v[96:99], a[86:87], v[34:35], v[96:99]// 000000003E78: D3F30060 0D824556
	s_waitcnt lgkmcnt(5)                                       // 000000003E80: BF8CC57F
	v_mfma_f32_16x16x32_fp8_fp8 v[92:95], a[72:73], v[36:37], v[92:95]// 000000003E84: D3F3005C 0D724948
	v_mfma_f32_16x16x32_fp8_fp8 v[96:99], a[88:89], v[36:37], v[96:99]// 000000003E8C: D3F30060 0D824958
	v_mfma_f32_16x16x32_fp8_fp8 v[92:95], a[74:75], v[38:39], v[92:95]// 000000003E94: D3F3005C 0D724D4A
	buffer_load_dwordx4 a[104:107], v206, s[16:19], 0 offen    // 000000003E9C: E05C1000 808468CE
	v_mfma_f32_16x16x32_fp8_fp8 v[96:99], a[90:91], v[38:39], v[96:99]// 000000003EA4: D3F30060 0D824D5A
	s_waitcnt lgkmcnt(4)                                       // 000000003EAC: BF8CC47F
	v_mfma_f32_16x16x32_fp8_fp8 v[92:95], a[76:77], v[40:41], v[92:95]// 000000003EB0: D3F3005C 0D72514C
	v_mfma_f32_16x16x32_fp8_fp8 v[96:99], a[92:93], v[40:41], v[96:99]// 000000003EB8: D3F30060 0D82515C
	v_mfma_f32_16x16x32_fp8_fp8 v[92:95], a[78:79], v[42:43], v[92:95]// 000000003EC0: D3F3005C 0D72554E
	buffer_load_dwordx4 a[108:111], v207, s[16:19], 0 offen    // 000000003EC8: E05C1000 80846CCF
	v_mfma_f32_16x16x32_fp8_fp8 v[96:99], a[94:95], v[42:43], v[96:99]// 000000003ED0: D3F30060 0D82555E
	s_waitcnt lgkmcnt(3)                                       // 000000003ED8: BF8CC37F
	v_mfma_f32_16x16x32_fp8_fp8 v[100:103], a[64:65], v[44:45], 0// 000000003EDC: D3F30064 0A025940
	v_mfma_f32_16x16x32_fp8_fp8 v[104:107], a[80:81], v[44:45], 0// 000000003EE4: D3F30068 0A025950
	v_mfma_f32_16x16x32_fp8_fp8 v[100:103], a[66:67], v[46:47], v[100:103]// 000000003EEC: D3F30064 0D925D42
	buffer_load_dwordx4 a[112:115], v204, s[16:19], 0 offen offset:1024// 000000003EF4: E05C1400 808470CC
	v_mfma_f32_16x16x32_fp8_fp8 v[104:107], a[82:83], v[46:47], v[104:107]// 000000003EFC: D3F30068 0DA25D52
	s_waitcnt lgkmcnt(2)                                       // 000000003F04: BF8CC27F
	v_mfma_f32_16x16x32_fp8_fp8 v[100:103], a[68:69], v[48:49], v[100:103]// 000000003F08: D3F30064 0D926144
	v_mfma_f32_16x16x32_fp8_fp8 v[104:107], a[84:85], v[48:49], v[104:107]// 000000003F10: D3F30068 0DA26154
	v_mfma_f32_16x16x32_fp8_fp8 v[100:103], a[70:71], v[50:51], v[100:103]// 000000003F18: D3F30064 0D926546
	buffer_load_dwordx4 a[116:119], v205, s[16:19], 0 offen offset:1024// 000000003F20: E05C1400 808474CD
	v_mfma_f32_16x16x32_fp8_fp8 v[104:107], a[86:87], v[50:51], v[104:107]// 000000003F28: D3F30068 0DA26556
	s_waitcnt lgkmcnt(1)                                       // 000000003F30: BF8CC17F
	v_mfma_f32_16x16x32_fp8_fp8 v[100:103], a[72:73], v[52:53], v[100:103]// 000000003F34: D3F30064 0D926948
	v_mfma_f32_16x16x32_fp8_fp8 v[104:107], a[88:89], v[52:53], v[104:107]// 000000003F3C: D3F30068 0DA26958
	v_mfma_f32_16x16x32_fp8_fp8 v[100:103], a[74:75], v[54:55], v[100:103]// 000000003F44: D3F30064 0D926D4A
	buffer_load_dwordx4 a[120:123], v206, s[16:19], 0 offen offset:1024// 000000003F4C: E05C1400 808478CE
	v_mfma_f32_16x16x32_fp8_fp8 v[104:107], a[90:91], v[54:55], v[104:107]// 000000003F54: D3F30068 0DA26D5A
	s_waitcnt lgkmcnt(0)                                       // 000000003F5C: BF8CC07F
	v_mfma_f32_16x16x32_fp8_fp8 v[100:103], a[76:77], v[56:57], v[100:103]// 000000003F60: D3F30064 0D92714C
	v_mfma_f32_16x16x32_fp8_fp8 v[104:107], a[92:93], v[56:57], v[104:107]// 000000003F68: D3F30068 0DA2715C
	v_mfma_f32_16x16x32_fp8_fp8 v[100:103], a[78:79], v[58:59], v[100:103]// 000000003F70: D3F30064 0D92754E
	buffer_load_dwordx4 a[124:127], v207, s[16:19], 0 offen offset:1024// 000000003F78: E05C1400 80847CCF
	v_mfma_f32_16x16x32_fp8_fp8 v[104:107], a[94:95], v[58:59], v[104:107]// 000000003F80: D3F30068 0DA2755E
	s_addk_i32 s64, 0x100                                      // 000000003F88: B7400100
	s_branch label_0664                                        // 000000003F8C: BF820000

0000000000003f90 <label_0664>:
	s_cmp_lt_i32 s64, s63                                      // 000000003F90: BF043F40
	s_cbranch_scc0 label_14F0                                  // 000000003F94: BF840E8A
	s_waitcnt vmcnt(10)                                        // 000000003F98: BF8C0F7A
	s_lshl_b32 s68, s76, 2                                     // 000000003F9C: 8E44824C
	s_cmp_lt_u32 s76, s77                                      // 000000003FA0: BF0A4D4C
	s_cselect_b32 s68, s68, 0                                  // 000000003FA4: 85448044
	s_addk_i32 s76, 0x1                                        // 000000003FA8: B74C0001
	s_load_dword s59, s[42:43], s68                            // 000000003FAC: C0000ED5 00000044
	s_waitcnt lgkmcnt(0)                                       // 000000003FB4: BF8CC07F
	s_mul_i32 s69, s59, s50                                    // 000000003FB8: 9245323B
	s_mul_i32 s71, s59, s66                                    // 000000003FBC: 9247423B
	s_mul_i32 s54, s78, s51                                    // 000000003FC0: 9236334E
	s_add_u32 s69, s69, s54                                    // 000000003FC4: 80453645
	s_mov_b32 s70, s69                                         // 000000003FC8: BEC60045
	s_mul_i32 s54, s78, 4                                      // 000000003FCC: 9236844E
	s_add_u32 s71, s71, s54                                    // 000000003FD0: 80473647
	s_add_u32 s12, s86, s69                                    // 000000003FD4: 800C4556
	s_addc_u32 s13, s87, 0                                     // 000000003FD8: 820D8057
	s_add_u32 s16, s88, s70                                    // 000000003FDC: 80104658
	s_addc_u32 s17, s89, 0                                     // 000000003FE0: 82118059
	s_add_u32 s20, s90, s71                                    // 000000003FE4: 8014475A
	s_addc_u32 s21, s91, 0                                     // 000000003FE8: 8215805B
	s_add_u32 s24, s92, s71                                    // 000000003FEC: 8018475C
	s_addc_u32 s25, s93, 0                                     // 000000003FF0: 8219805D
	v_mfma_f32_16x16x32_fp8_fp8 v[28:31], a[32:33], v[12:13], 0// 000000003FF4: D3F3001C 0A021920
	v_mfma_f32_16x16x32_fp8_fp8 v[28:31], a[34:35], v[14:15], v[28:31]// 000000003FFC: D3F3001C 0C721D22
	v_mfma_f32_16x16x32_fp8_fp8 v[28:31], a[36:37], v[16:17], v[28:31]// 000000004004: D3F3001C 0C722124
	buffer_load_dwordx4 a[0:3], v202, s[12:15], 0 offen        // 00000000400C: E05C1000 808300CA
	v_mfma_f32_16x16x32_fp8_fp8 v[28:31], a[38:39], v[18:19], v[28:31]// 000000004014: D3F3001C 0C722526
	v_mfma_f32_16x16x32_fp8_fp8 v[32:35], a[40:41], v[12:13], 0// 00000000401C: D3F30020 0A021928
	v_mfma_f32_16x16x32_fp8_fp8 v[32:35], a[42:43], v[14:15], v[32:35]// 000000004024: D3F30020 0C821D2A
	v_mfma_f32_16x16x32_fp8_fp8 v[32:35], a[44:45], v[16:17], v[32:35]// 00000000402C: D3F30020 0C82212C
	buffer_load_dwordx4 a[4:7], v203, s[12:15], 0 offen        // 000000004034: E05C1000 808304CB
	v_mfma_f32_16x16x32_fp8_fp8 v[32:35], a[46:47], v[18:19], v[32:35]// 00000000403C: D3F30020 0C82252E
	v_mfma_f32_16x16x32_fp8_fp8 v[36:39], a[48:49], v[12:13], 0// 000000004044: D3F30024 0A021930
	v_mfma_f32_16x16x32_fp8_fp8 v[36:39], a[50:51], v[14:15], v[36:39]// 00000000404C: D3F30024 0C921D32
	v_mfma_f32_16x16x32_fp8_fp8 v[36:39], a[52:53], v[16:17], v[36:39]// 000000004054: D3F30024 0C922134
	buffer_load_dwordx4 a[8:11], v202, s[12:15], 0 offen offset:1024// 00000000405C: E05C1400 808308CA
	v_mfma_f32_16x16x32_fp8_fp8 v[36:39], a[54:55], v[18:19], v[36:39]// 000000004064: D3F30024 0C922536
	v_mfma_f32_16x16x32_fp8_fp8 v[40:43], a[56:57], v[12:13], 0// 00000000406C: D3F30028 0A021938
	v_mfma_f32_16x16x32_fp8_fp8 v[40:43], a[58:59], v[14:15], v[40:43]// 000000004074: D3F30028 0CA21D3A
	v_mfma_f32_16x16x32_fp8_fp8 v[40:43], a[60:61], v[16:17], v[40:43]// 00000000407C: D3F30028 0CA2213C
	buffer_load_dwordx4 a[12:15], v203, s[12:15], 0 offen offset:1024// 000000004084: E05C1400 80830CCB
	v_mfma_f32_16x16x32_fp8_fp8 v[40:43], a[62:63], v[18:19], v[40:43]// 00000000408C: D3F30028 0CA2253E
	v_mfma_f32_16x16x32_fp8_fp8 v[44:47], a[32:33], v[20:21], 0// 000000004094: D3F3002C 0A022920
	v_mfma_f32_16x16x32_fp8_fp8 v[44:47], a[34:35], v[22:23], v[44:47]// 00000000409C: D3F3002C 0CB22D22
	v_mfma_f32_16x16x32_fp8_fp8 v[44:47], a[36:37], v[24:25], v[44:47]// 0000000040A4: D3F3002C 0CB23124
	buffer_load_dwordx4 a[16:19], v202, s[12:15], 0 offen offset:2048// 0000000040AC: E05C1800 808310CA
	v_mfma_f32_16x16x32_fp8_fp8 v[44:47], a[38:39], v[26:27], v[44:47]// 0000000040B4: D3F3002C 0CB23526
	v_mfma_f32_16x16x32_fp8_fp8 v[48:51], a[40:41], v[20:21], 0// 0000000040BC: D3F30030 0A022928
	v_mfma_f32_16x16x32_fp8_fp8 v[48:51], a[42:43], v[22:23], v[48:51]// 0000000040C4: D3F30030 0CC22D2A
	v_mfma_f32_16x16x32_fp8_fp8 v[48:51], a[44:45], v[24:25], v[48:51]// 0000000040CC: D3F30030 0CC2312C
	buffer_load_dwordx4 a[20:23], v203, s[12:15], 0 offen offset:2048// 0000000040D4: E05C1800 808314CB
	v_mfma_f32_16x16x32_fp8_fp8 v[48:51], a[46:47], v[26:27], v[48:51]// 0000000040DC: D3F30030 0CC2352E
	v_mfma_f32_16x16x32_fp8_fp8 v[52:55], a[48:49], v[20:21], 0// 0000000040E4: D3F30034 0A022930
	v_mfma_f32_16x16x32_fp8_fp8 v[52:55], a[50:51], v[22:23], v[52:55]// 0000000040EC: D3F30034 0CD22D32
	v_mfma_f32_16x16x32_fp8_fp8 v[52:55], a[52:53], v[24:25], v[52:55]// 0000000040F4: D3F30034 0CD23134
	buffer_load_dwordx4 a[24:27], v202, s[12:15], 0 offen offset:3072// 0000000040FC: E05C1C00 808318CA
	v_mfma_f32_16x16x32_fp8_fp8 v[52:55], a[54:55], v[26:27], v[52:55]// 000000004104: D3F30034 0CD23536
	v_mfma_f32_16x16x32_fp8_fp8 v[56:59], a[56:57], v[20:21], 0// 00000000410C: D3F30038 0A022938
	v_mfma_f32_16x16x32_fp8_fp8 v[56:59], a[58:59], v[22:23], v[56:59]// 000000004114: D3F30038 0CE22D3A
	v_mfma_f32_16x16x32_fp8_fp8 v[56:59], a[60:61], v[24:25], v[56:59]// 00000000411C: D3F30038 0CE2313C
	buffer_load_dwordx4 a[28:31], v203, s[12:15], 0 offen offset:3072// 000000004124: E05C1C00 80831CCB
	v_mfma_f32_16x16x32_fp8_fp8 v[56:59], a[62:63], v[26:27], v[56:59]// 00000000412C: D3F30038 0CE2353E
	s_waitcnt vmcnt(16)                                        // 000000004134: BF8C4F70
	v_pk_mul_f32 v[28:29], v[124:125], v[28:29]                // 000000004138: D3B1401C 1802397C
	v_pk_mul_f32 v[30:31], v[124:125], v[30:31]                // 000000004140: D3B1401E 18023D7C
	v_mul_f32_dpp v28, v129, v28 row_newbcast:0 row_mask:0xf bank_mask:0xf// 000000004148: 0A3838FA FF015081
	v_mul_f32_dpp v29, v129, v29 row_newbcast:1 row_mask:0xf bank_mask:0xf// 000000004150: 0A3A3AFA FF015181
	v_mul_f32_dpp v30, v129, v30 row_newbcast:2 row_mask:0xf bank_mask:0xf// 000000004158: 0A3C3CFA FF015281
	v_mul_f32_dpp v31, v129, v31 row_newbcast:3 row_mask:0xf bank_mask:0xf// 000000004160: 0A3E3EFA FF015381
	v_pk_mul_f32 v[32:33], v[124:125], v[32:33]                // 000000004168: D3B14020 1802417C
	v_pk_mul_f32 v[34:35], v[124:125], v[34:35]                // 000000004170: D3B14022 1802457C
	v_mul_f32_dpp v32, v129, v32 row_newbcast:4 row_mask:0xf bank_mask:0xf// 000000004178: 0A4040FA FF015481
	v_mul_f32_dpp v33, v129, v33 row_newbcast:5 row_mask:0xf bank_mask:0xf// 000000004180: 0A4242FA FF015581
	v_mul_f32_dpp v34, v129, v34 row_newbcast:6 row_mask:0xf bank_mask:0xf// 000000004188: 0A4444FA FF015681
	v_mul_f32_dpp v35, v129, v35 row_newbcast:7 row_mask:0xf bank_mask:0xf// 000000004190: 0A4646FA FF015781
	v_pk_mul_f32 v[36:37], v[124:125], v[36:37]                // 000000004198: D3B14024 1802497C
	v_pk_mul_f32 v[38:39], v[124:125], v[38:39]                // 0000000041A0: D3B14026 18024D7C
	v_mul_f32_dpp v36, v129, v36 row_newbcast:8 row_mask:0xf bank_mask:0xf// 0000000041A8: 0A4848FA FF015881
	v_mul_f32_dpp v37, v129, v37 row_newbcast:9 row_mask:0xf bank_mask:0xf// 0000000041B0: 0A4A4AFA FF015981
	v_mul_f32_dpp v38, v129, v38 row_newbcast:10 row_mask:0xf bank_mask:0xf// 0000000041B8: 0A4C4CFA FF015A81
	v_mul_f32_dpp v39, v129, v39 row_newbcast:11 row_mask:0xf bank_mask:0xf// 0000000041C0: 0A4E4EFA FF015B81
	v_pk_mul_f32 v[40:41], v[124:125], v[40:41]                // 0000000041C8: D3B14028 1802517C
	v_pk_mul_f32 v[42:43], v[124:125], v[42:43]                // 0000000041D0: D3B1402A 1802557C
	v_mul_f32_dpp v40, v129, v40 row_newbcast:12 row_mask:0xf bank_mask:0xf// 0000000041D8: 0A5050FA FF015C81
	v_mul_f32_dpp v41, v129, v41 row_newbcast:13 row_mask:0xf bank_mask:0xf// 0000000041E0: 0A5252FA FF015D81
	v_mul_f32_dpp v42, v129, v42 row_newbcast:14 row_mask:0xf bank_mask:0xf// 0000000041E8: 0A5454FA FF015E81
	v_mul_f32_dpp v43, v129, v43 row_newbcast:15 row_mask:0xf bank_mask:0xf// 0000000041F0: 0A5656FA FF015F81
	v_pk_mul_f32 v[44:45], v[126:127], v[44:45]                // 0000000041F8: D3B1402C 1802597E
	v_pk_mul_f32 v[46:47], v[126:127], v[46:47]                // 000000004200: D3B1402E 18025D7E
	v_mul_f32_dpp v44, v129, v44 row_newbcast:0 row_mask:0xf bank_mask:0xf// 000000004208: 0A5858FA FF015081
	v_mul_f32_dpp v45, v129, v45 row_newbcast:1 row_mask:0xf bank_mask:0xf// 000000004210: 0A5A5AFA FF015181
	v_mul_f32_dpp v46, v129, v46 row_newbcast:2 row_mask:0xf bank_mask:0xf// 000000004218: 0A5C5CFA FF015281
	v_mul_f32_dpp v47, v129, v47 row_newbcast:3 row_mask:0xf bank_mask:0xf// 000000004220: 0A5E5EFA FF015381
	v_pk_mul_f32 v[48:49], v[126:127], v[48:49]                // 000000004228: D3B14030 1802617E
	v_pk_mul_f32 v[50:51], v[126:127], v[50:51]                // 000000004230: D3B14032 1802657E
	v_mul_f32_dpp v48, v129, v48 row_newbcast:4 row_mask:0xf bank_mask:0xf// 000000004238: 0A6060FA FF015481
	v_mul_f32_dpp v49, v129, v49 row_newbcast:5 row_mask:0xf bank_mask:0xf// 000000004240: 0A6262FA FF015581
	v_mul_f32_dpp v50, v129, v50 row_newbcast:6 row_mask:0xf bank_mask:0xf// 000000004248: 0A6464FA FF015681
	v_mul_f32_dpp v51, v129, v51 row_newbcast:7 row_mask:0xf bank_mask:0xf// 000000004250: 0A6666FA FF015781
	v_pk_mul_f32 v[52:53], v[126:127], v[52:53]                // 000000004258: D3B14034 1802697E
	v_pk_mul_f32 v[54:55], v[126:127], v[54:55]                // 000000004260: D3B14036 18026D7E
	v_mul_f32_dpp v52, v129, v52 row_newbcast:8 row_mask:0xf bank_mask:0xf// 000000004268: 0A6868FA FF015881
	v_mul_f32_dpp v53, v129, v53 row_newbcast:9 row_mask:0xf bank_mask:0xf// 000000004270: 0A6A6AFA FF015981
	v_mul_f32_dpp v54, v129, v54 row_newbcast:10 row_mask:0xf bank_mask:0xf// 000000004278: 0A6C6CFA FF015A81
	v_mul_f32_dpp v55, v129, v55 row_newbcast:11 row_mask:0xf bank_mask:0xf// 000000004280: 0A6E6EFA FF015B81
	v_pk_mul_f32 v[56:57], v[126:127], v[56:57]                // 000000004288: D3B14038 1802717E
	v_pk_mul_f32 v[58:59], v[126:127], v[58:59]                // 000000004290: D3B1403A 1802757E
	v_mul_f32_dpp v56, v129, v56 row_newbcast:12 row_mask:0xf bank_mask:0xf// 000000004298: 0A7070FA FF015C81
	v_mul_f32_dpp v57, v129, v57 row_newbcast:13 row_mask:0xf bank_mask:0xf// 0000000042A0: 0A7272FA FF015D81
	v_mul_f32_dpp v58, v129, v58 row_newbcast:14 row_mask:0xf bank_mask:0xf// 0000000042A8: 0A7474FA FF015E81
	v_mul_f32_dpp v59, v129, v59 row_newbcast:15 row_mask:0xf bank_mask:0xf// 0000000042B0: 0A7676FA FF015F81
	v_mov_b32_e32 v150, v28                                    // 0000000042B8: 7F2C031C
	v_max3_f32 v150, v28, v29, v150                            // 0000000042BC: D1D30096 065A3B1C
	v_max3_f32 v150, v30, v31, v150                            // 0000000042C4: D1D30096 065A3F1E
	v_max3_f32 v150, v32, v33, v150                            // 0000000042CC: D1D30096 065A4320
	v_max3_f32 v150, v34, v35, v150                            // 0000000042D4: D1D30096 065A4722
	v_max3_f32 v150, v36, v37, v150                            // 0000000042DC: D1D30096 065A4B24
	v_max3_f32 v150, v38, v39, v150                            // 0000000042E4: D1D30096 065A4F26
	v_max3_f32 v150, v40, v41, v150                            // 0000000042EC: D1D30096 065A5328
	v_max3_f32 v150, v42, v43, v150                            // 0000000042F4: D1D30096 065A572A
	v_mov_b32_e32 v151, v44                                    // 0000000042FC: 7F2E032C
	v_max3_f32 v151, v44, v45, v151                            // 000000004300: D1D30097 065E5B2C
	v_max3_f32 v151, v46, v47, v151                            // 000000004308: D1D30097 065E5F2E
	v_max3_f32 v151, v48, v49, v151                            // 000000004310: D1D30097 065E6330
	v_max3_f32 v151, v50, v51, v151                            // 000000004318: D1D30097 065E6732
	v_max3_f32 v151, v52, v53, v151                            // 000000004320: D1D30097 065E6B34
	v_max3_f32 v151, v54, v55, v151                            // 000000004328: D1D30097 065E6F36
	v_max3_f32 v151, v56, v57, v151                            // 000000004330: D1D30097 065E7338
	v_max3_f32 v151, v58, v59, v151                            // 000000004338: D1D30097 065E773A
	ds_write_b64 v220, v[150:151]                              // 000000004340: D89A0000 000096DC
	v_pk_mul_f32 v[108:109], v[142:143], v[108:109]            // 000000004348: D3B1406C 1802D98E
	v_pk_mul_f32 v[110:111], v[142:143], v[110:111]            // 000000004350: D3B1406E 1802DD8E
	v_pk_mul_f32 v[112:113], v[142:143], v[112:113]            // 000000004358: D3B14070 1802E18E
	v_pk_mul_f32 v[114:115], v[142:143], v[114:115]            // 000000004360: D3B14072 1802E58E
	v_pk_mul_f32 v[116:117], v[144:145], v[116:117]            // 000000004368: D3B14074 1802E990
	v_pk_mul_f32 v[118:119], v[144:145], v[118:119]            // 000000004370: D3B14076 1802ED90
	v_pk_mul_f32 v[120:121], v[144:145], v[120:121]            // 000000004378: D3B14078 1802F190
	v_pk_mul_f32 v[122:123], v[144:145], v[122:123]            // 000000004380: D3B1407A 1802F590
	s_waitcnt lgkmcnt(0)                                       // 000000004388: BF8CC07F
	s_barrier                                                  // 00000000438C: BF8A0000
	ds_read_b64 v[154:155], v221                               // 000000004390: D8EC0000 9A0000DD
	ds_read_b64 v[156:157], v221 offset:128                    // 000000004398: D8EC0080 9C0000DD
	ds_read_b64 v[158:159], v221 offset:256                    // 0000000043A0: D8EC0100 9E0000DD
	ds_read_b64 v[160:161], v221 offset:384                    // 0000000043A8: D8EC0180 A00000DD
	ds_read_b64 v[162:163], v221 offset:512                    // 0000000043B0: D8EC0200 A20000DD
	ds_read_b64 v[164:165], v221 offset:640                    // 0000000043B8: D8EC0280 A40000DD
	ds_read_b64 v[166:167], v221 offset:768                    // 0000000043C0: D8EC0300 A60000DD
	ds_read_b64 v[168:169], v221 offset:896                    // 0000000043C8: D8EC0380 A80000DD
	ds_read_b64 v[170:171], v221 offset:1024                   // 0000000043D0: D8EC0400 AA0000DD
	ds_read_b64 v[172:173], v221 offset:1152                   // 0000000043D8: D8EC0480 AC0000DD
	ds_read_b64 v[174:175], v221 offset:1280                   // 0000000043E0: D8EC0500 AE0000DD
	ds_read_b64 v[176:177], v221 offset:1408                   // 0000000043E8: D8EC0580 B00000DD
	ds_read_b64 v[178:179], v221 offset:1536                   // 0000000043F0: D8EC0600 B20000DD
	ds_read_b64 v[180:181], v221 offset:1664                   // 0000000043F8: D8EC0680 B40000DD
	ds_read_b64 v[182:183], v221 offset:1792                   // 000000004400: D8EC0700 B60000DD
	ds_read_b64 v[184:185], v221 offset:1920                   // 000000004408: D8EC0780 B80000DD
	v_pk_mul_f32 v[92:93], v[132:133], v[92:93]                // 000000004410: D3B1405C 1802B984
	v_pk_mul_f32 v[94:95], v[132:133], v[94:95]                // 000000004418: D3B1405E 1802BD84
	v_pk_mul_f32 v[96:97], v[132:133], v[96:97]                // 000000004420: D3B14060 1802C184
	v_pk_mul_f32 v[98:99], v[132:133], v[98:99]                // 000000004428: D3B14062 1802C584
	v_pk_mul_f32 v[100:101], v[134:135], v[100:101]            // 000000004430: D3B14064 1802C986
	v_pk_mul_f32 v[102:103], v[134:135], v[102:103]            // 000000004438: D3B14066 1802CD86
	v_pk_mul_f32 v[104:105], v[134:135], v[104:105]            // 000000004440: D3B14068 1802D186
	v_pk_mul_f32 v[106:107], v[134:135], v[106:107]            // 000000004448: D3B1406A 1802D586
	s_waitcnt lgkmcnt(0)                                       // 000000004450: BF8CC07F
	v_max3_f32 v150, v154, v156, v150                          // 000000004454: D1D30096 065B399A
	v_max3_f32 v151, v155, v157, v151                          // 00000000445C: D1D30097 065F3B9B
	v_max3_f32 v150, v158, v160, v150                          // 000000004464: D1D30096 065B419E
	v_max3_f32 v151, v159, v161, v151                          // 00000000446C: D1D30097 065F439F
	v_max3_f32 v150, v162, v164, v150                          // 000000004474: D1D30096 065B49A2
	v_max3_f32 v151, v163, v165, v151                          // 00000000447C: D1D30097 065F4BA3
	v_max3_f32 v150, v166, v168, v150                          // 000000004484: D1D30096 065B51A6
	v_max3_f32 v151, v167, v169, v151                          // 00000000448C: D1D30097 065F53A7
	v_max3_f32 v150, v170, v172, v150                          // 000000004494: D1D30096 065B59AA
	v_max3_f32 v151, v171, v173, v151                          // 00000000449C: D1D30097 065F5BAB
	v_max3_f32 v150, v174, v176, v150                          // 0000000044A4: D1D30096 065B61AE
	v_max3_f32 v151, v175, v177, v151                          // 0000000044AC: D1D30097 065F63AF
	v_max3_f32 v150, v178, v180, v150                          // 0000000044B4: D1D30096 065B69B2
	v_max3_f32 v151, v179, v181, v151                          // 0000000044BC: D1D30097 065F6BB3
	v_max3_f32 v150, v182, v184, v150                          // 0000000044C4: D1D30096 065B71B6
	v_max3_f32 v151, v183, v185, v151                          // 0000000044CC: D1D30097 065F73B7
	v_max_f32_e32 v140, v150, v138                             // 0000000044D4: 17191596
	v_mul_f32_e64 v186, -s46, v140                             // 0000000044D8: D10500BA 2003182E
	v_mov_b32_e32 v187, v186                                   // 0000000044E0: 7F7603BA
	v_pk_fma_f32 v[28:29], v[28:29], s[46:47], v[186:187]      // 0000000044E4: D3B0401C 1EE85D1C
	v_pk_fma_f32 v[30:31], v[30:31], s[46:47], v[186:187]      // 0000000044EC: D3B0401E 1EE85D1E
	v_exp_f32_e32 v28, v28                                     // 0000000044F4: 7E38411C
	v_exp_f32_e32 v29, v29                                     // 0000000044F8: 7E3A411D
	v_exp_f32_e32 v30, v30                                     // 0000000044FC: 7E3C411E
	v_exp_f32_e32 v31, v31                                     // 000000004500: 7E3E411F
	v_pk_fma_f32 v[32:33], v[32:33], s[46:47], v[186:187]      // 000000004504: D3B04020 1EE85D20
	v_pk_fma_f32 v[34:35], v[34:35], s[46:47], v[186:187]      // 00000000450C: D3B04022 1EE85D22
	v_exp_f32_e32 v32, v32                                     // 000000004514: 7E404120
	v_exp_f32_e32 v33, v33                                     // 000000004518: 7E424121
	v_exp_f32_e32 v34, v34                                     // 00000000451C: 7E444122
	v_exp_f32_e32 v35, v35                                     // 000000004520: 7E464123
	v_pk_fma_f32 v[36:37], v[36:37], s[46:47], v[186:187]      // 000000004524: D3B04024 1EE85D24
	v_pk_fma_f32 v[38:39], v[38:39], s[46:47], v[186:187]      // 00000000452C: D3B04026 1EE85D26
	v_exp_f32_e32 v36, v36                                     // 000000004534: 7E484124
	v_exp_f32_e32 v37, v37                                     // 000000004538: 7E4A4125
	v_exp_f32_e32 v38, v38                                     // 00000000453C: 7E4C4126
	v_exp_f32_e32 v39, v39                                     // 000000004540: 7E4E4127
	v_pk_fma_f32 v[40:41], v[40:41], s[46:47], v[186:187]      // 000000004544: D3B04028 1EE85D28
	v_pk_fma_f32 v[42:43], v[42:43], s[46:47], v[186:187]      // 00000000454C: D3B0402A 1EE85D2A
	v_exp_f32_e32 v40, v40                                     // 000000004554: 7E504128
	v_exp_f32_e32 v41, v41                                     // 000000004558: 7E524129
	v_exp_f32_e32 v42, v42                                     // 00000000455C: 7E54412A
	v_exp_f32_e32 v43, v43                                     // 000000004560: 7E56412B
	v_max_f32_e32 v141, v151, v139                             // 000000004564: 171B1797
	v_mul_f32_e64 v186, -s46, v141                             // 000000004568: D10500BA 20031A2E
	v_mov_b32_e32 v187, v186                                   // 000000004570: 7F7603BA
	v_pk_fma_f32 v[44:45], v[44:45], s[46:47], v[186:187]      // 000000004574: D3B0402C 1EE85D2C
	v_pk_fma_f32 v[46:47], v[46:47], s[46:47], v[186:187]      // 00000000457C: D3B0402E 1EE85D2E
	v_exp_f32_e32 v44, v44                                     // 000000004584: 7E58412C
	v_exp_f32_e32 v45, v45                                     // 000000004588: 7E5A412D
	v_exp_f32_e32 v46, v46                                     // 00000000458C: 7E5C412E
	v_exp_f32_e32 v47, v47                                     // 000000004590: 7E5E412F
	v_pk_fma_f32 v[48:49], v[48:49], s[46:47], v[186:187]      // 000000004594: D3B04030 1EE85D30
	v_pk_fma_f32 v[50:51], v[50:51], s[46:47], v[186:187]      // 00000000459C: D3B04032 1EE85D32
	v_exp_f32_e32 v48, v48                                     // 0000000045A4: 7E604130
	v_exp_f32_e32 v49, v49                                     // 0000000045A8: 7E624131
	v_exp_f32_e32 v50, v50                                     // 0000000045AC: 7E644132
	v_exp_f32_e32 v51, v51                                     // 0000000045B0: 7E664133
	v_pk_fma_f32 v[52:53], v[52:53], s[46:47], v[186:187]      // 0000000045B4: D3B04034 1EE85D34
	v_pk_fma_f32 v[54:55], v[54:55], s[46:47], v[186:187]      // 0000000045BC: D3B04036 1EE85D36
	v_exp_f32_e32 v52, v52                                     // 0000000045C4: 7E684134
	v_exp_f32_e32 v53, v53                                     // 0000000045C8: 7E6A4135
	v_exp_f32_e32 v54, v54                                     // 0000000045CC: 7E6C4136
	v_exp_f32_e32 v55, v55                                     // 0000000045D0: 7E6E4137
	v_pk_fma_f32 v[56:57], v[56:57], s[46:47], v[186:187]      // 0000000045D4: D3B04038 1EE85D38
	v_pk_fma_f32 v[58:59], v[58:59], s[46:47], v[186:187]      // 0000000045DC: D3B0403A 1EE85D3A
	v_exp_f32_e32 v56, v56                                     // 0000000045E4: 7E704138
	v_exp_f32_e32 v57, v57                                     // 0000000045E8: 7E724139
	v_exp_f32_e32 v58, v58                                     // 0000000045EC: 7E74413A
	v_exp_f32_e32 v59, v59                                     // 0000000045F0: 7E76413B
	v_mul_f32_dpp v60, v131, v28 row_newbcast:0 row_mask:0xf bank_mask:0xf// 0000000045F4: 0A7838FA FF015083
	v_mul_f32_dpp v61, v131, v29 row_newbcast:1 row_mask:0xf bank_mask:0xf// 0000000045FC: 0A7A3AFA FF015183
	v_mul_f32_dpp v62, v131, v30 row_newbcast:2 row_mask:0xf bank_mask:0xf// 000000004604: 0A7C3CFA FF015283
	v_mul_f32_dpp v63, v131, v31 row_newbcast:3 row_mask:0xf bank_mask:0xf// 00000000460C: 0A7E3EFA FF015383
	v_mul_f32_dpp v64, v131, v32 row_newbcast:4 row_mask:0xf bank_mask:0xf// 000000004614: 0A8040FA FF015483
	v_mul_f32_dpp v65, v131, v33 row_newbcast:5 row_mask:0xf bank_mask:0xf// 00000000461C: 0A8242FA FF015583
	v_mul_f32_dpp v66, v131, v34 row_newbcast:6 row_mask:0xf bank_mask:0xf// 000000004624: 0A8444FA FF015683
	v_mul_f32_dpp v67, v131, v35 row_newbcast:7 row_mask:0xf bank_mask:0xf// 00000000462C: 0A8646FA FF015783
	v_mul_f32_dpp v68, v131, v36 row_newbcast:8 row_mask:0xf bank_mask:0xf// 000000004634: 0A8848FA FF015883
	v_mul_f32_dpp v69, v131, v37 row_newbcast:9 row_mask:0xf bank_mask:0xf// 00000000463C: 0A8A4AFA FF015983
	v_mul_f32_dpp v70, v131, v38 row_newbcast:10 row_mask:0xf bank_mask:0xf// 000000004644: 0A8C4CFA FF015A83
	v_mul_f32_dpp v71, v131, v39 row_newbcast:11 row_mask:0xf bank_mask:0xf// 00000000464C: 0A8E4EFA FF015B83
	v_mul_f32_dpp v72, v131, v40 row_newbcast:12 row_mask:0xf bank_mask:0xf// 000000004654: 0A9050FA FF015C83
	v_mul_f32_dpp v73, v131, v41 row_newbcast:13 row_mask:0xf bank_mask:0xf// 00000000465C: 0A9252FA FF015D83
	v_mul_f32_dpp v74, v131, v42 row_newbcast:14 row_mask:0xf bank_mask:0xf// 000000004664: 0A9454FA FF015E83
	v_mul_f32_dpp v75, v131, v43 row_newbcast:15 row_mask:0xf bank_mask:0xf// 00000000466C: 0A9656FA FF015F83
	v_mul_f32_dpp v76, v131, v44 row_newbcast:0 row_mask:0xf bank_mask:0xf// 000000004674: 0A9858FA FF015083
	v_mul_f32_dpp v77, v131, v45 row_newbcast:1 row_mask:0xf bank_mask:0xf// 00000000467C: 0A9A5AFA FF015183
	v_mul_f32_dpp v78, v131, v46 row_newbcast:2 row_mask:0xf bank_mask:0xf// 000000004684: 0A9C5CFA FF015283
	v_mul_f32_dpp v79, v131, v47 row_newbcast:3 row_mask:0xf bank_mask:0xf// 00000000468C: 0A9E5EFA FF015383
	v_mul_f32_dpp v80, v131, v48 row_newbcast:4 row_mask:0xf bank_mask:0xf// 000000004694: 0AA060FA FF015483
	v_mul_f32_dpp v81, v131, v49 row_newbcast:5 row_mask:0xf bank_mask:0xf// 00000000469C: 0AA262FA FF015583
	v_mul_f32_dpp v82, v131, v50 row_newbcast:6 row_mask:0xf bank_mask:0xf// 0000000046A4: 0AA464FA FF015683
	v_mul_f32_dpp v83, v131, v51 row_newbcast:7 row_mask:0xf bank_mask:0xf// 0000000046AC: 0AA666FA FF015783
	v_mul_f32_dpp v84, v131, v52 row_newbcast:8 row_mask:0xf bank_mask:0xf// 0000000046B4: 0AA868FA FF015883
	v_mul_f32_dpp v85, v131, v53 row_newbcast:9 row_mask:0xf bank_mask:0xf// 0000000046BC: 0AAA6AFA FF015983
	v_mul_f32_dpp v86, v131, v54 row_newbcast:10 row_mask:0xf bank_mask:0xf// 0000000046C4: 0AAC6CFA FF015A83
	v_mul_f32_dpp v87, v131, v55 row_newbcast:11 row_mask:0xf bank_mask:0xf// 0000000046CC: 0AAE6EFA FF015B83
	v_mul_f32_dpp v88, v131, v56 row_newbcast:12 row_mask:0xf bank_mask:0xf// 0000000046D4: 0AB070FA FF015C83
	v_mul_f32_dpp v89, v131, v57 row_newbcast:13 row_mask:0xf bank_mask:0xf// 0000000046DC: 0AB272FA FF015D83
	v_mul_f32_dpp v90, v131, v58 row_newbcast:14 row_mask:0xf bank_mask:0xf// 0000000046E4: 0AB474FA FF015E83
	v_mul_f32_dpp v91, v131, v59 row_newbcast:15 row_mask:0xf bank_mask:0xf// 0000000046EC: 0AB676FA FF015F83
	buffer_load_dword v128, v208, s[20:23], 0 offen            // 0000000046F4: E0501000 800580D0
	v_sub_f32_e32 v142, v138, v140                             // 0000000046FC: 051D198A
	v_cmp_eq_u32_e64 s[98:99], v197, v138                      // 000000004700: D0CA0062 000315C5
	v_cndmask_b32_e64 v142, v142, 0, s[98:99]                  // 000000004708: D100008E 0189018E
	v_mov_b32_e32 v138, v140                                   // 000000004710: 7F14038C
	v_mul_f32_e32 v142, s46, v142                              // 000000004714: 0B1D1C2E
	v_exp_f32_e32 v142, v142                                   // 000000004718: 7F1C418E
	v_sub_f32_e32 v144, v139, v141                             // 00000000471C: 05211B8B
	v_cmp_eq_u32_e64 s[98:99], v197, v139                      // 000000004720: D0CA0062 000317C5
	v_cndmask_b32_e64 v144, v144, 0, s[98:99]                  // 000000004728: D1000090 01890190
	v_mov_b32_e32 v139, v141                                   // 000000004730: 7F16038D
	v_mul_f32_e32 v144, s46, v144                              // 000000004734: 0B21202E
	v_exp_f32_e32 v144, v144                                   // 000000004738: 7F204190
	v_mov_b32_e32 v143, v142                                   // 00000000473C: 7F1E038E
	v_mov_b32_e32 v145, v144                                   // 000000004740: 7F220390
	buffer_load_dword v130, v209, s[24:27], 0 offen            // 000000004744: E0501000 800682D1
	s_waitcnt lgkmcnt(0)                                       // 00000000474C: BF8CC07F
	s_barrier                                                  // 000000004750: BF8A0000
	v_mul_f32_e32 v146, v142, v146                             // 000000004754: 0B25258E
	v_mov_b32_e32 v147, 0                                      // 000000004758: 7F260280
	v_pk_add_f32 v[146:147], v[28:29], v[146:147]              // 00000000475C: D3B24092 1803251C
	v_pk_add_f32 v[146:147], v[30:31], v[146:147]              // 000000004764: D3B24092 1803251E
	v_pk_add_f32 v[146:147], v[32:33], v[146:147]              // 00000000476C: D3B24092 18032520
	v_pk_add_f32 v[146:147], v[34:35], v[146:147]              // 000000004774: D3B24092 18032522
	v_pk_add_f32 v[146:147], v[36:37], v[146:147]              // 00000000477C: D3B24092 18032524
	v_pk_add_f32 v[146:147], v[38:39], v[146:147]              // 000000004784: D3B24092 18032526
	v_pk_add_f32 v[146:147], v[40:41], v[146:147]              // 00000000478C: D3B24092 18032528
	v_pk_add_f32 v[146:147], v[42:43], v[146:147]              // 000000004794: D3B24092 1803252A
	v_add_f32_e32 v146, v147, v146                             // 00000000479C: 03252593
	v_mul_f32_e32 v148, v144, v148                             // 0000000047A0: 0B292990
	v_mov_b32_e32 v149, 0                                      // 0000000047A4: 7F2A0280
	v_pk_add_f32 v[148:149], v[44:45], v[148:149]              // 0000000047A8: D3B24094 1803292C
	v_pk_add_f32 v[148:149], v[46:47], v[148:149]              // 0000000047B0: D3B24094 1803292E
	v_pk_add_f32 v[148:149], v[48:49], v[148:149]              // 0000000047B8: D3B24094 18032930
	v_pk_add_f32 v[148:149], v[50:51], v[148:149]              // 0000000047C0: D3B24094 18032932
	v_pk_add_f32 v[148:149], v[52:53], v[148:149]              // 0000000047C8: D3B24094 18032934
	v_pk_add_f32 v[148:149], v[54:55], v[148:149]              // 0000000047D0: D3B24094 18032936
	v_pk_add_f32 v[148:149], v[56:57], v[148:149]              // 0000000047D8: D3B24094 18032938
	v_pk_add_f32 v[148:149], v[58:59], v[148:149]              // 0000000047E0: D3B24094 1803293A
	v_add_f32_e32 v148, v149, v148                             // 0000000047E8: 03292995
	s_waitcnt lgkmcnt(0)                                       // 0000000047EC: BF8CC07F
	v_sub_f32_e32 v150, v150, v138                             // 0000000047F0: 052D1596
	v_sub_f32_e32 v151, v151, v139                             // 0000000047F4: 052F1797
	v_mul_f32_e32 v150, s46, v150                              // 0000000047F8: 0B2D2C2E
	v_mul_f32_e32 v151, s46, v151                              // 0000000047FC: 0B2F2E2E
	v_exp_f32_e32 v150, v150                                   // 000000004800: 7F2C4196
	v_exp_f32_e32 v151, v151                                   // 000000004804: 7F2E4197
	v_mul_f32_e32 v150, v131, v150                             // 000000004808: 0B2D2D83
	v_mul_f32_e32 v151, v131, v151                             // 00000000480C: 0B2F2F83
	v_add_f32_e32 v150, 0x3089705f, v150                       // 000000004810: 032D2CFF 3089705F
	v_add_f32_e32 v151, 0x3089705f, v151                       // 000000004818: 032F2EFF 3089705F
	v_rcp_f32_e32 v150, v150                                   // 000000004820: 7F2C4596
	v_rcp_f32_e32 v151, v151                                   // 000000004824: 7F2E4597
	v_mul_f32_e32 v150, 0x43700000, v150                       // 000000004828: 0B2D2CFF 43700000
	v_mul_f32_e32 v151, 0x43700000, v151                       // 000000004830: 0B2F2EFF 43700000
	v_mov_b32_e32 v152, v151                                   // 000000004838: 7F300397
	v_mov_b32_e32 v153, v151                                   // 00000000483C: 7F320397
	v_mov_b32_e32 v151, v150                                   // 000000004840: 7F2E0396
	v_pk_mul_f32 v[28:29], v[150:151], v[60:61]                // 000000004844: D3B1401C 18027996
	v_pk_mul_f32 v[30:31], v[150:151], v[62:63]                // 00000000484C: D3B1401E 18027D96
	v_pk_mul_f32 v[32:33], v[150:151], v[64:65]                // 000000004854: D3B14020 18028196
	v_pk_mul_f32 v[34:35], v[150:151], v[66:67]                // 00000000485C: D3B14022 18028596
	v_pk_mul_f32 v[36:37], v[150:151], v[68:69]                // 000000004864: D3B14024 18028996
	v_pk_mul_f32 v[38:39], v[150:151], v[70:71]                // 00000000486C: D3B14026 18028D96
	v_pk_mul_f32 v[40:41], v[150:151], v[72:73]                // 000000004874: D3B14028 18029196
	v_pk_mul_f32 v[42:43], v[150:151], v[74:75]                // 00000000487C: D3B1402A 18029596
	v_pk_mul_f32 v[44:45], v[152:153], v[76:77]                // 000000004884: D3B1402C 18029998
	v_pk_mul_f32 v[46:47], v[152:153], v[78:79]                // 00000000488C: D3B1402E 18029D98
	v_pk_mul_f32 v[48:49], v[152:153], v[80:81]                // 000000004894: D3B14030 1802A198
	v_pk_mul_f32 v[50:51], v[152:153], v[82:83]                // 00000000489C: D3B14032 1802A598
	v_pk_mul_f32 v[52:53], v[152:153], v[84:85]                // 0000000048A4: D3B14034 1802A998
	v_pk_mul_f32 v[54:55], v[152:153], v[86:87]                // 0000000048AC: D3B14036 1802AD98
	v_pk_mul_f32 v[56:57], v[152:153], v[88:89]                // 0000000048B4: D3B14038 1802B198
	v_pk_mul_f32 v[58:59], v[152:153], v[90:91]                // 0000000048BC: D3B1403A 1802B598
	v_cvt_pk_fp8_f32 v28, v28, v29                             // 0000000048C4: D2A2001C 00023B1C
	v_cvt_pk_fp8_f32 v28, v30, v31 op_sel:[0,0,1]              // 0000000048CC: D2A2401C 00023F1E
	v_cvt_pk_fp8_f32 v29, v32, v33                             // 0000000048D4: D2A2001D 00024320
	v_cvt_pk_fp8_f32 v29, v34, v35 op_sel:[0,0,1]              // 0000000048DC: D2A2401D 00024722
	v_cvt_pk_fp8_f32 v30, v36, v37                             // 0000000048E4: D2A2001E 00024B24
	v_cvt_pk_fp8_f32 v30, v38, v39 op_sel:[0,0,1]              // 0000000048EC: D2A2401E 00024F26
	v_cvt_pk_fp8_f32 v31, v40, v41                             // 0000000048F4: D2A2001F 00025328
	v_cvt_pk_fp8_f32 v31, v42, v43 op_sel:[0,0,1]              // 0000000048FC: D2A2401F 0002572A
	v_cvt_pk_fp8_f32 v32, v44, v45                             // 000000004904: D2A20020 00025B2C
	v_cvt_pk_fp8_f32 v32, v46, v47 op_sel:[0,0,1]              // 00000000490C: D2A24020 00025F2E
	v_cvt_pk_fp8_f32 v33, v48, v49                             // 000000004914: D2A20021 00026330
	v_cvt_pk_fp8_f32 v33, v50, v51 op_sel:[0,0,1]              // 00000000491C: D2A24021 00026732
	v_cvt_pk_fp8_f32 v34, v52, v53                             // 000000004924: D2A20022 00026B34
	v_cvt_pk_fp8_f32 v34, v54, v55 op_sel:[0,0,1]              // 00000000492C: D2A24022 00026F36
	v_cvt_pk_fp8_f32 v35, v56, v57                             // 000000004934: D2A20023 00027338
	v_cvt_pk_fp8_f32 v35, v58, v59 op_sel:[0,0,1]              // 00000000493C: D2A24023 0002773A
	ds_write_b32 v222, v28 offset:4608                         // 000000004944: D81A1200 00001CDE
	ds_write_b32 v222, v29 offset:5632                         // 00000000494C: D81A1600 00001DDE
	ds_write_b32 v222, v30 offset:6656                         // 000000004954: D81A1A00 00001EDE
	ds_write_b32 v222, v31 offset:7680                         // 00000000495C: D81A1E00 00001FDE
	ds_write_b32 v222, v32 offset:8704                         // 000000004964: D81A2200 000020DE
	ds_write_b32 v222, v33 offset:9728                         // 00000000496C: D81A2600 000021DE
	ds_write_b32 v222, v34 offset:10752                        // 000000004974: D81A2A00 000022DE
	ds_write_b32 v222, v35 offset:11776                        // 00000000497C: D81A2E00 000023DE
	v_rcp_f32_e32 v132, v150                                   // 000000004984: 7F084596
	v_rcp_f32_e32 v134, v152                                   // 000000004988: 7F0C4598
	v_mov_b32_e32 v133, v132                                   // 00000000498C: 7F0A0384
	v_mov_b32_e32 v135, v134                                   // 000000004990: 7F0E0386
	v_pk_add_f32 v[108:109], v[108:109], v[92:93]              // 000000004994: D3B2406C 1802B96C
	v_pk_add_f32 v[110:111], v[110:111], v[94:95]              // 00000000499C: D3B2406E 1802BD6E
	v_pk_add_f32 v[112:113], v[112:113], v[96:97]              // 0000000049A4: D3B24070 1802C170
	v_pk_add_f32 v[114:115], v[114:115], v[98:99]              // 0000000049AC: D3B24072 1802C572
	v_pk_add_f32 v[116:117], v[116:117], v[100:101]            // 0000000049B4: D3B24074 1802C974
	v_pk_add_f32 v[118:119], v[118:119], v[102:103]            // 0000000049BC: D3B24076 1802CD76
	v_pk_add_f32 v[120:121], v[120:121], v[104:105]            // 0000000049C4: D3B24078 1802D178
	v_pk_add_f32 v[122:123], v[122:123], v[106:107]            // 0000000049CC: D3B2407A 1802D57A
	s_waitcnt lgkmcnt(0)                                       // 0000000049D4: BF8CC07F
	s_barrier                                                  // 0000000049D8: BF8A0000
	ds_read_b128 v[28:31], v223 offset:4608                    // 0000000049DC: D9FE1200 1C0000DF
	ds_read_b128 v[32:35], v223 offset:5632                    // 0000000049E4: D9FE1600 200000DF
	ds_read_b128 v[36:39], v223 offset:6656                    // 0000000049EC: D9FE1A00 240000DF
	ds_read_b128 v[40:43], v223 offset:7680                    // 0000000049F4: D9FE1E00 280000DF
	ds_read_b128 v[44:47], v223 offset:8704                    // 0000000049FC: D9FE2200 2C0000DF
	ds_read_b128 v[48:51], v223 offset:9728                    // 000000004A04: D9FE2600 300000DF
	ds_read_b128 v[52:55], v223 offset:10752                   // 000000004A0C: D9FE2A00 340000DF
	ds_read_b128 v[56:59], v223 offset:11776                   // 000000004A14: D9FE2E00 380000DF
	s_waitcnt vmcnt(10)                                        // 000000004A1C: BF8C0F7A
	s_waitcnt lgkmcnt(7)                                       // 000000004A20: BF8CC77F
	v_mfma_f32_16x16x32_fp8_fp8 v[92:95], a[96:97], v[28:29], 0// 000000004A24: D3F3005C 0A023960
	v_mfma_f32_16x16x32_fp8_fp8 v[96:99], a[112:113], v[28:29], 0// 000000004A2C: D3F30060 0A023970
	v_mfma_f32_16x16x32_fp8_fp8 v[92:95], a[98:99], v[30:31], v[92:95]// 000000004A34: D3F3005C 0D723D62
	buffer_load_dwordx4 a[64:67], v204, s[16:19], 0 offen      // 000000004A3C: E05C1000 808440CC
	v_mfma_f32_16x16x32_fp8_fp8 v[96:99], a[114:115], v[30:31], v[96:99]// 000000004A44: D3F30060 0D823D72
	s_waitcnt lgkmcnt(6)                                       // 000000004A4C: BF8CC67F
	v_mfma_f32_16x16x32_fp8_fp8 v[92:95], a[100:101], v[32:33], v[92:95]// 000000004A50: D3F3005C 0D724164
	v_mfma_f32_16x16x32_fp8_fp8 v[96:99], a[116:117], v[32:33], v[96:99]// 000000004A58: D3F30060 0D824174
	v_mfma_f32_16x16x32_fp8_fp8 v[92:95], a[102:103], v[34:35], v[92:95]// 000000004A60: D3F3005C 0D724566
	buffer_load_dwordx4 a[68:71], v205, s[16:19], 0 offen      // 000000004A68: E05C1000 808444CD
	v_mfma_f32_16x16x32_fp8_fp8 v[96:99], a[118:119], v[34:35], v[96:99]// 000000004A70: D3F30060 0D824576
	s_waitcnt lgkmcnt(5)                                       // 000000004A78: BF8CC57F
	v_mfma_f32_16x16x32_fp8_fp8 v[92:95], a[104:105], v[36:37], v[92:95]// 000000004A7C: D3F3005C 0D724968
	v_mfma_f32_16x16x32_fp8_fp8 v[96:99], a[120:121], v[36:37], v[96:99]// 000000004A84: D3F30060 0D824978
	v_mfma_f32_16x16x32_fp8_fp8 v[92:95], a[106:107], v[38:39], v[92:95]// 000000004A8C: D3F3005C 0D724D6A
	buffer_load_dwordx4 a[72:75], v206, s[16:19], 0 offen      // 000000004A94: E05C1000 808448CE
	v_mfma_f32_16x16x32_fp8_fp8 v[96:99], a[122:123], v[38:39], v[96:99]// 000000004A9C: D3F30060 0D824D7A
	s_waitcnt lgkmcnt(4)                                       // 000000004AA4: BF8CC47F
	v_mfma_f32_16x16x32_fp8_fp8 v[92:95], a[108:109], v[40:41], v[92:95]// 000000004AA8: D3F3005C 0D72516C
	v_mfma_f32_16x16x32_fp8_fp8 v[96:99], a[124:125], v[40:41], v[96:99]// 000000004AB0: D3F30060 0D82517C
	v_mfma_f32_16x16x32_fp8_fp8 v[92:95], a[110:111], v[42:43], v[92:95]// 000000004AB8: D3F3005C 0D72556E
	buffer_load_dwordx4 a[76:79], v207, s[16:19], 0 offen      // 000000004AC0: E05C1000 80844CCF
	v_mfma_f32_16x16x32_fp8_fp8 v[96:99], a[126:127], v[42:43], v[96:99]// 000000004AC8: D3F30060 0D82557E
	s_waitcnt lgkmcnt(3)                                       // 000000004AD0: BF8CC37F
	v_mfma_f32_16x16x32_fp8_fp8 v[100:103], a[96:97], v[44:45], 0// 000000004AD4: D3F30064 0A025960
	v_mfma_f32_16x16x32_fp8_fp8 v[104:107], a[112:113], v[44:45], 0// 000000004ADC: D3F30068 0A025970
	v_mfma_f32_16x16x32_fp8_fp8 v[100:103], a[98:99], v[46:47], v[100:103]// 000000004AE4: D3F30064 0D925D62
	buffer_load_dwordx4 a[80:83], v204, s[16:19], 0 offen offset:1024// 000000004AEC: E05C1400 808450CC
	v_mfma_f32_16x16x32_fp8_fp8 v[104:107], a[114:115], v[46:47], v[104:107]// 000000004AF4: D3F30068 0DA25D72
	s_waitcnt lgkmcnt(2)                                       // 000000004AFC: BF8CC27F
	v_mfma_f32_16x16x32_fp8_fp8 v[100:103], a[100:101], v[48:49], v[100:103]// 000000004B00: D3F30064 0D926164
	v_mfma_f32_16x16x32_fp8_fp8 v[104:107], a[116:117], v[48:49], v[104:107]// 000000004B08: D3F30068 0DA26174
	v_mfma_f32_16x16x32_fp8_fp8 v[100:103], a[102:103], v[50:51], v[100:103]// 000000004B10: D3F30064 0D926566
	buffer_load_dwordx4 a[84:87], v205, s[16:19], 0 offen offset:1024// 000000004B18: E05C1400 808454CD
	v_mfma_f32_16x16x32_fp8_fp8 v[104:107], a[118:119], v[50:51], v[104:107]// 000000004B20: D3F30068 0DA26576
	s_waitcnt lgkmcnt(1)                                       // 000000004B28: BF8CC17F
	v_mfma_f32_16x16x32_fp8_fp8 v[100:103], a[104:105], v[52:53], v[100:103]// 000000004B2C: D3F30064 0D926968
	v_mfma_f32_16x16x32_fp8_fp8 v[104:107], a[120:121], v[52:53], v[104:107]// 000000004B34: D3F30068 0DA26978
	v_mfma_f32_16x16x32_fp8_fp8 v[100:103], a[106:107], v[54:55], v[100:103]// 000000004B3C: D3F30064 0D926D6A
	buffer_load_dwordx4 a[88:91], v206, s[16:19], 0 offen offset:1024// 000000004B44: E05C1400 808458CE
	v_mfma_f32_16x16x32_fp8_fp8 v[104:107], a[122:123], v[54:55], v[104:107]// 000000004B4C: D3F30068 0DA26D7A
	s_waitcnt lgkmcnt(0)                                       // 000000004B54: BF8CC07F
	v_mfma_f32_16x16x32_fp8_fp8 v[100:103], a[108:109], v[56:57], v[100:103]// 000000004B58: D3F30064 0D92716C
	v_mfma_f32_16x16x32_fp8_fp8 v[104:107], a[124:125], v[56:57], v[104:107]// 000000004B60: D3F30068 0DA2717C
	v_mfma_f32_16x16x32_fp8_fp8 v[100:103], a[110:111], v[58:59], v[100:103]// 000000004B68: D3F30064 0D92756E
	buffer_load_dwordx4 a[92:95], v207, s[16:19], 0 offen offset:1024// 000000004B70: E05C1400 80845CCF
	v_mfma_f32_16x16x32_fp8_fp8 v[104:107], a[126:127], v[58:59], v[104:107]// 000000004B78: D3F30068 0DA2757E
	s_addk_i32 s64, 0x100                                      // 000000004B80: B7400100
	s_branch label_0366                                        // 000000004B84: BF82FA04

0000000000004b88 <label_0962>:
	s_cmp_lt_i32 s64, s63                                      // 000000004B88: BF043F40
	s_cbranch_scc0 label_0F5E                                  // 000000004B8C: BF8405FA
	s_waitcnt vmcnt(10)                                        // 000000004B90: BF8C0F7A
	s_lshl_b32 s68, s76, 2                                     // 000000004B94: 8E44824C
	s_cmp_lt_u32 s76, s77                                      // 000000004B98: BF0A4D4C
	s_cselect_b32 s68, s68, 0                                  // 000000004B9C: 85448044
	s_addk_i32 s76, 0x1                                        // 000000004BA0: B74C0001
	s_load_dword s59, s[42:43], s68                            // 000000004BA4: C0000ED5 00000044
	s_waitcnt lgkmcnt(0)                                       // 000000004BAC: BF8CC07F
	s_mul_i32 s69, s59, s50                                    // 000000004BB0: 9245323B
	s_mul_i32 s71, s59, s66                                    // 000000004BB4: 9247423B
	s_mul_i32 s54, s78, s51                                    // 000000004BB8: 9236334E
	s_add_u32 s69, s69, s54                                    // 000000004BBC: 80453645
	s_mov_b32 s70, s69                                         // 000000004BC0: BEC60045
	s_mul_i32 s54, s78, 4                                      // 000000004BC4: 9236844E
	s_add_u32 s71, s71, s54                                    // 000000004BC8: 80473647
	s_add_u32 s12, s86, s69                                    // 000000004BCC: 800C4556
	s_addc_u32 s13, s87, 0                                     // 000000004BD0: 820D8057
	s_add_u32 s16, s88, s70                                    // 000000004BD4: 80104658
	s_addc_u32 s17, s89, 0                                     // 000000004BD8: 82118059
	s_add_u32 s20, s90, s71                                    // 000000004BDC: 8014475A
	s_addc_u32 s21, s91, 0                                     // 000000004BE0: 8215805B
	s_add_u32 s24, s92, s71                                    // 000000004BE4: 8018475C
	s_addc_u32 s25, s93, 0                                     // 000000004BE8: 8219805D
	v_mfma_f32_16x16x32_fp8_fp8 v[28:31], a[0:1], v[12:13], 0  // 000000004BEC: D3F3001C 0A021900
	v_mfma_f32_16x16x32_fp8_fp8 v[28:31], a[2:3], v[14:15], v[28:31]// 000000004BF4: D3F3001C 0C721D02
	v_mfma_f32_16x16x32_fp8_fp8 v[28:31], a[4:5], v[16:17], v[28:31]// 000000004BFC: D3F3001C 0C722104
	buffer_load_dwordx4 a[32:35], v202, s[12:15], 0 offen      // 000000004C04: E05C1000 808320CA
	v_mfma_f32_16x16x32_fp8_fp8 v[28:31], a[6:7], v[18:19], v[28:31]// 000000004C0C: D3F3001C 0C722506
	v_mfma_f32_16x16x32_fp8_fp8 v[32:35], a[8:9], v[12:13], 0  // 000000004C14: D3F30020 0A021908
	v_mfma_f32_16x16x32_fp8_fp8 v[32:35], a[10:11], v[14:15], v[32:35]// 000000004C1C: D3F30020 0C821D0A
	v_mfma_f32_16x16x32_fp8_fp8 v[32:35], a[12:13], v[16:17], v[32:35]// 000000004C24: D3F30020 0C82210C
	buffer_load_dwordx4 a[36:39], v203, s[12:15], 0 offen      // 000000004C2C: E05C1000 808324CB
	v_mfma_f32_16x16x32_fp8_fp8 v[32:35], a[14:15], v[18:19], v[32:35]// 000000004C34: D3F30020 0C82250E
	v_mfma_f32_16x16x32_fp8_fp8 v[36:39], a[16:17], v[12:13], 0// 000000004C3C: D3F30024 0A021910
	v_mfma_f32_16x16x32_fp8_fp8 v[36:39], a[18:19], v[14:15], v[36:39]// 000000004C44: D3F30024 0C921D12
	v_mfma_f32_16x16x32_fp8_fp8 v[36:39], a[20:21], v[16:17], v[36:39]// 000000004C4C: D3F30024 0C922114
	buffer_load_dwordx4 a[40:43], v202, s[12:15], 0 offen offset:1024// 000000004C54: E05C1400 808328CA
	v_mfma_f32_16x16x32_fp8_fp8 v[36:39], a[22:23], v[18:19], v[36:39]// 000000004C5C: D3F30024 0C922516
	v_mfma_f32_16x16x32_fp8_fp8 v[40:43], a[24:25], v[12:13], 0// 000000004C64: D3F30028 0A021918
	v_mfma_f32_16x16x32_fp8_fp8 v[40:43], a[26:27], v[14:15], v[40:43]// 000000004C6C: D3F30028 0CA21D1A
	v_mfma_f32_16x16x32_fp8_fp8 v[40:43], a[28:29], v[16:17], v[40:43]// 000000004C74: D3F30028 0CA2211C
	buffer_load_dwordx4 a[44:47], v203, s[12:15], 0 offen offset:1024// 000000004C7C: E05C1400 80832CCB
	v_mfma_f32_16x16x32_fp8_fp8 v[40:43], a[30:31], v[18:19], v[40:43]// 000000004C84: D3F30028 0CA2251E
	v_mfma_f32_16x16x32_fp8_fp8 v[44:47], a[0:1], v[20:21], 0  // 000000004C8C: D3F3002C 0A022900
	v_mfma_f32_16x16x32_fp8_fp8 v[44:47], a[2:3], v[22:23], v[44:47]// 000000004C94: D3F3002C 0CB22D02
	v_mfma_f32_16x16x32_fp8_fp8 v[44:47], a[4:5], v[24:25], v[44:47]// 000000004C9C: D3F3002C 0CB23104
	buffer_load_dwordx4 a[48:51], v202, s[12:15], 0 offen offset:2048// 000000004CA4: E05C1800 808330CA
	v_mfma_f32_16x16x32_fp8_fp8 v[44:47], a[6:7], v[26:27], v[44:47]// 000000004CAC: D3F3002C 0CB23506
	v_mfma_f32_16x16x32_fp8_fp8 v[48:51], a[8:9], v[20:21], 0  // 000000004CB4: D3F30030 0A022908
	v_mfma_f32_16x16x32_fp8_fp8 v[48:51], a[10:11], v[22:23], v[48:51]// 000000004CBC: D3F30030 0CC22D0A
	v_mfma_f32_16x16x32_fp8_fp8 v[48:51], a[12:13], v[24:25], v[48:51]// 000000004CC4: D3F30030 0CC2310C
	buffer_load_dwordx4 a[52:55], v203, s[12:15], 0 offen offset:2048// 000000004CCC: E05C1800 808334CB
	v_mfma_f32_16x16x32_fp8_fp8 v[48:51], a[14:15], v[26:27], v[48:51]// 000000004CD4: D3F30030 0CC2350E
	v_mfma_f32_16x16x32_fp8_fp8 v[52:55], a[16:17], v[20:21], 0// 000000004CDC: D3F30034 0A022910
	v_mfma_f32_16x16x32_fp8_fp8 v[52:55], a[18:19], v[22:23], v[52:55]// 000000004CE4: D3F30034 0CD22D12
	v_mfma_f32_16x16x32_fp8_fp8 v[52:55], a[20:21], v[24:25], v[52:55]// 000000004CEC: D3F30034 0CD23114
	buffer_load_dwordx4 a[56:59], v202, s[12:15], 0 offen offset:3072// 000000004CF4: E05C1C00 808338CA
	v_mfma_f32_16x16x32_fp8_fp8 v[52:55], a[22:23], v[26:27], v[52:55]// 000000004CFC: D3F30034 0CD23516
	v_mfma_f32_16x16x32_fp8_fp8 v[56:59], a[24:25], v[20:21], 0// 000000004D04: D3F30038 0A022918
	v_mfma_f32_16x16x32_fp8_fp8 v[56:59], a[26:27], v[22:23], v[56:59]// 000000004D0C: D3F30038 0CE22D1A
	v_mfma_f32_16x16x32_fp8_fp8 v[56:59], a[28:29], v[24:25], v[56:59]// 000000004D14: D3F30038 0CE2311C
	buffer_load_dwordx4 a[60:63], v203, s[12:15], 0 offen offset:3072// 000000004D1C: E05C1C00 80833CCB
	v_mfma_f32_16x16x32_fp8_fp8 v[56:59], a[30:31], v[26:27], v[56:59]// 000000004D24: D3F30038 0CE2351E
	s_waitcnt vmcnt(16)                                        // 000000004D2C: BF8C4F70
	v_pk_mul_f32 v[28:29], v[124:125], v[28:29]                // 000000004D30: D3B1401C 1802397C
	v_pk_mul_f32 v[30:31], v[124:125], v[30:31]                // 000000004D38: D3B1401E 18023D7C
	v_mul_f32_dpp v28, v128, v28 row_newbcast:0 row_mask:0xf bank_mask:0xf// 000000004D40: 0A3838FA FF015080
	v_mul_f32_dpp v29, v128, v29 row_newbcast:1 row_mask:0xf bank_mask:0xf// 000000004D48: 0A3A3AFA FF015180
	v_mul_f32_dpp v30, v128, v30 row_newbcast:2 row_mask:0xf bank_mask:0xf// 000000004D50: 0A3C3CFA FF015280
	v_mul_f32_dpp v31, v128, v31 row_newbcast:3 row_mask:0xf bank_mask:0xf// 000000004D58: 0A3E3EFA FF015380
	v_pk_mul_f32 v[32:33], v[124:125], v[32:33]                // 000000004D60: D3B14020 1802417C
	v_pk_mul_f32 v[34:35], v[124:125], v[34:35]                // 000000004D68: D3B14022 1802457C
	v_mul_f32_dpp v32, v128, v32 row_newbcast:4 row_mask:0xf bank_mask:0xf// 000000004D70: 0A4040FA FF015480
	v_mul_f32_dpp v33, v128, v33 row_newbcast:5 row_mask:0xf bank_mask:0xf// 000000004D78: 0A4242FA FF015580
	v_mul_f32_dpp v34, v128, v34 row_newbcast:6 row_mask:0xf bank_mask:0xf// 000000004D80: 0A4444FA FF015680
	v_mul_f32_dpp v35, v128, v35 row_newbcast:7 row_mask:0xf bank_mask:0xf// 000000004D88: 0A4646FA FF015780
	v_pk_mul_f32 v[36:37], v[124:125], v[36:37]                // 000000004D90: D3B14024 1802497C
	v_pk_mul_f32 v[38:39], v[124:125], v[38:39]                // 000000004D98: D3B14026 18024D7C
	v_mul_f32_dpp v36, v128, v36 row_newbcast:8 row_mask:0xf bank_mask:0xf// 000000004DA0: 0A4848FA FF015880
	v_mul_f32_dpp v37, v128, v37 row_newbcast:9 row_mask:0xf bank_mask:0xf// 000000004DA8: 0A4A4AFA FF015980
	v_mul_f32_dpp v38, v128, v38 row_newbcast:10 row_mask:0xf bank_mask:0xf// 000000004DB0: 0A4C4CFA FF015A80
	v_mul_f32_dpp v39, v128, v39 row_newbcast:11 row_mask:0xf bank_mask:0xf// 000000004DB8: 0A4E4EFA FF015B80
	v_pk_mul_f32 v[40:41], v[124:125], v[40:41]                // 000000004DC0: D3B14028 1802517C
	v_pk_mul_f32 v[42:43], v[124:125], v[42:43]                // 000000004DC8: D3B1402A 1802557C
	v_mul_f32_dpp v40, v128, v40 row_newbcast:12 row_mask:0xf bank_mask:0xf// 000000004DD0: 0A5050FA FF015C80
	v_mul_f32_dpp v41, v128, v41 row_newbcast:13 row_mask:0xf bank_mask:0xf// 000000004DD8: 0A5252FA FF015D80
	v_mul_f32_dpp v42, v128, v42 row_newbcast:14 row_mask:0xf bank_mask:0xf// 000000004DE0: 0A5454FA FF015E80
	v_mul_f32_dpp v43, v128, v43 row_newbcast:15 row_mask:0xf bank_mask:0xf// 000000004DE8: 0A5656FA FF015F80
	v_pk_mul_f32 v[44:45], v[126:127], v[44:45]                // 000000004DF0: D3B1402C 1802597E
	v_pk_mul_f32 v[46:47], v[126:127], v[46:47]                // 000000004DF8: D3B1402E 18025D7E
	v_mul_f32_dpp v44, v128, v44 row_newbcast:0 row_mask:0xf bank_mask:0xf// 000000004E00: 0A5858FA FF015080
	v_mul_f32_dpp v45, v128, v45 row_newbcast:1 row_mask:0xf bank_mask:0xf// 000000004E08: 0A5A5AFA FF015180
	v_mul_f32_dpp v46, v128, v46 row_newbcast:2 row_mask:0xf bank_mask:0xf// 000000004E10: 0A5C5CFA FF015280
	v_mul_f32_dpp v47, v128, v47 row_newbcast:3 row_mask:0xf bank_mask:0xf// 000000004E18: 0A5E5EFA FF015380
	v_pk_mul_f32 v[48:49], v[126:127], v[48:49]                // 000000004E20: D3B14030 1802617E
	v_pk_mul_f32 v[50:51], v[126:127], v[50:51]                // 000000004E28: D3B14032 1802657E
	v_mul_f32_dpp v48, v128, v48 row_newbcast:4 row_mask:0xf bank_mask:0xf// 000000004E30: 0A6060FA FF015480
	v_mul_f32_dpp v49, v128, v49 row_newbcast:5 row_mask:0xf bank_mask:0xf// 000000004E38: 0A6262FA FF015580
	v_mul_f32_dpp v50, v128, v50 row_newbcast:6 row_mask:0xf bank_mask:0xf// 000000004E40: 0A6464FA FF015680
	v_mul_f32_dpp v51, v128, v51 row_newbcast:7 row_mask:0xf bank_mask:0xf// 000000004E48: 0A6666FA FF015780
	v_pk_mul_f32 v[52:53], v[126:127], v[52:53]                // 000000004E50: D3B14034 1802697E
	v_pk_mul_f32 v[54:55], v[126:127], v[54:55]                // 000000004E58: D3B14036 18026D7E
	v_mul_f32_dpp v52, v128, v52 row_newbcast:8 row_mask:0xf bank_mask:0xf// 000000004E60: 0A6868FA FF015880
	v_mul_f32_dpp v53, v128, v53 row_newbcast:9 row_mask:0xf bank_mask:0xf// 000000004E68: 0A6A6AFA FF015980
	v_mul_f32_dpp v54, v128, v54 row_newbcast:10 row_mask:0xf bank_mask:0xf// 000000004E70: 0A6C6CFA FF015A80
	v_mul_f32_dpp v55, v128, v55 row_newbcast:11 row_mask:0xf bank_mask:0xf// 000000004E78: 0A6E6EFA FF015B80
	v_pk_mul_f32 v[56:57], v[126:127], v[56:57]                // 000000004E80: D3B14038 1802717E
	v_pk_mul_f32 v[58:59], v[126:127], v[58:59]                // 000000004E88: D3B1403A 1802757E
	v_mul_f32_dpp v56, v128, v56 row_newbcast:12 row_mask:0xf bank_mask:0xf// 000000004E90: 0A7070FA FF015C80
	v_mul_f32_dpp v57, v128, v57 row_newbcast:13 row_mask:0xf bank_mask:0xf// 000000004E98: 0A7272FA FF015D80
	v_mul_f32_dpp v58, v128, v58 row_newbcast:14 row_mask:0xf bank_mask:0xf// 000000004EA0: 0A7474FA FF015E80
	v_mul_f32_dpp v59, v128, v59 row_newbcast:15 row_mask:0xf bank_mask:0xf// 000000004EA8: 0A7676FA FF015F80
	v_mov_b32_e32 v150, v28                                    // 000000004EB0: 7F2C031C
	v_max3_f32 v150, v28, v29, v150                            // 000000004EB4: D1D30096 065A3B1C
	v_max3_f32 v150, v30, v31, v150                            // 000000004EBC: D1D30096 065A3F1E
	v_max3_f32 v150, v32, v33, v150                            // 000000004EC4: D1D30096 065A4320
	v_max3_f32 v150, v34, v35, v150                            // 000000004ECC: D1D30096 065A4722
	v_max3_f32 v150, v36, v37, v150                            // 000000004ED4: D1D30096 065A4B24
	v_max3_f32 v150, v38, v39, v150                            // 000000004EDC: D1D30096 065A4F26
	v_max3_f32 v150, v40, v41, v150                            // 000000004EE4: D1D30096 065A5328
	v_max3_f32 v150, v42, v43, v150                            // 000000004EEC: D1D30096 065A572A
	v_mov_b32_e32 v151, v44                                    // 000000004EF4: 7F2E032C
	v_max3_f32 v151, v44, v45, v151                            // 000000004EF8: D1D30097 065E5B2C
	v_max3_f32 v151, v46, v47, v151                            // 000000004F00: D1D30097 065E5F2E
	v_max3_f32 v151, v48, v49, v151                            // 000000004F08: D1D30097 065E6330
	v_max3_f32 v151, v50, v51, v151                            // 000000004F10: D1D30097 065E6732
	v_max3_f32 v151, v52, v53, v151                            // 000000004F18: D1D30097 065E6B34
	v_max3_f32 v151, v54, v55, v151                            // 000000004F20: D1D30097 065E6F36
	v_max3_f32 v151, v56, v57, v151                            // 000000004F28: D1D30097 065E7338
	v_max3_f32 v151, v58, v59, v151                            // 000000004F30: D1D30097 065E773A
	ds_write_b64 v220, v[150:151]                              // 000000004F38: D89A0000 000096DC
	v_pk_mul_f32 v[108:109], v[142:143], v[108:109]            // 000000004F40: D3B1406C 1802D98E
	v_pk_mul_f32 v[110:111], v[142:143], v[110:111]            // 000000004F48: D3B1406E 1802DD8E
	v_pk_mul_f32 v[112:113], v[142:143], v[112:113]            // 000000004F50: D3B14070 1802E18E
	v_pk_mul_f32 v[114:115], v[142:143], v[114:115]            // 000000004F58: D3B14072 1802E58E
	v_pk_mul_f32 v[116:117], v[144:145], v[116:117]            // 000000004F60: D3B14074 1802E990
	v_pk_mul_f32 v[118:119], v[144:145], v[118:119]            // 000000004F68: D3B14076 1802ED90
	v_pk_mul_f32 v[120:121], v[144:145], v[120:121]            // 000000004F70: D3B14078 1802F190
	v_pk_mul_f32 v[122:123], v[144:145], v[122:123]            // 000000004F78: D3B1407A 1802F590
	s_waitcnt lgkmcnt(0)                                       // 000000004F80: BF8CC07F
	s_barrier                                                  // 000000004F84: BF8A0000
	v_pk_mul_f32 v[92:93], v[132:133], v[92:93]                // 000000004F88: D3B1405C 1802B984
	v_pk_mul_f32 v[94:95], v[132:133], v[94:95]                // 000000004F90: D3B1405E 1802BD84
	v_pk_mul_f32 v[96:97], v[132:133], v[96:97]                // 000000004F98: D3B14060 1802C184
	v_pk_mul_f32 v[98:99], v[132:133], v[98:99]                // 000000004FA0: D3B14062 1802C584
	v_pk_mul_f32 v[100:101], v[134:135], v[100:101]            // 000000004FA8: D3B14064 1802C986
	v_pk_mul_f32 v[102:103], v[134:135], v[102:103]            // 000000004FB0: D3B14066 1802CD86
	v_pk_mul_f32 v[104:105], v[134:135], v[104:105]            // 000000004FB8: D3B14068 1802D186
	v_pk_mul_f32 v[106:107], v[134:135], v[106:107]            // 000000004FC0: D3B1406A 1802D586
	ds_read_b64 v[154:155], v221                               // 000000004FC8: D8EC0000 9A0000DD
	ds_read_b64 v[156:157], v221 offset:128                    // 000000004FD0: D8EC0080 9C0000DD
	ds_read_b64 v[158:159], v221 offset:256                    // 000000004FD8: D8EC0100 9E0000DD
	ds_read_b64 v[160:161], v221 offset:384                    // 000000004FE0: D8EC0180 A00000DD
	ds_read_b64 v[162:163], v221 offset:512                    // 000000004FE8: D8EC0200 A20000DD
	ds_read_b64 v[164:165], v221 offset:640                    // 000000004FF0: D8EC0280 A40000DD
	ds_read_b64 v[166:167], v221 offset:768                    // 000000004FF8: D8EC0300 A60000DD
	ds_read_b64 v[168:169], v221 offset:896                    // 000000005000: D8EC0380 A80000DD
	ds_read_b64 v[170:171], v221 offset:1024                   // 000000005008: D8EC0400 AA0000DD
	ds_read_b64 v[172:173], v221 offset:1152                   // 000000005010: D8EC0480 AC0000DD
	ds_read_b64 v[174:175], v221 offset:1280                   // 000000005018: D8EC0500 AE0000DD
	ds_read_b64 v[176:177], v221 offset:1408                   // 000000005020: D8EC0580 B00000DD
	ds_read_b64 v[178:179], v221 offset:1536                   // 000000005028: D8EC0600 B20000DD
	ds_read_b64 v[180:181], v221 offset:1664                   // 000000005030: D8EC0680 B40000DD
	ds_read_b64 v[182:183], v221 offset:1792                   // 000000005038: D8EC0700 B60000DD
	ds_read_b64 v[184:185], v221 offset:1920                   // 000000005040: D8EC0780 B80000DD
	s_waitcnt lgkmcnt(0)                                       // 000000005048: BF8CC07F
	v_max3_f32 v150, v154, v156, v150                          // 00000000504C: D1D30096 065B399A
	v_max3_f32 v151, v155, v157, v151                          // 000000005054: D1D30097 065F3B9B
	v_max3_f32 v150, v158, v160, v150                          // 00000000505C: D1D30096 065B419E
	v_max3_f32 v151, v159, v161, v151                          // 000000005064: D1D30097 065F439F
	v_max3_f32 v150, v162, v164, v150                          // 00000000506C: D1D30096 065B49A2
	v_max3_f32 v151, v163, v165, v151                          // 000000005074: D1D30097 065F4BA3
	v_max3_f32 v150, v166, v168, v150                          // 00000000507C: D1D30096 065B51A6
	v_max3_f32 v151, v167, v169, v151                          // 000000005084: D1D30097 065F53A7
	v_max3_f32 v150, v170, v172, v150                          // 00000000508C: D1D30096 065B59AA
	v_max3_f32 v151, v171, v173, v151                          // 000000005094: D1D30097 065F5BAB
	v_max3_f32 v150, v174, v176, v150                          // 00000000509C: D1D30096 065B61AE
	v_max3_f32 v151, v175, v177, v151                          // 0000000050A4: D1D30097 065F63AF
	v_max3_f32 v150, v178, v180, v150                          // 0000000050AC: D1D30096 065B69B2
	v_max3_f32 v151, v179, v181, v151                          // 0000000050B4: D1D30097 065F6BB3
	v_max3_f32 v150, v182, v184, v150                          // 0000000050BC: D1D30096 065B71B6
	v_max3_f32 v151, v183, v185, v151                          // 0000000050C4: D1D30097 065F73B7
	v_max_f32_e32 v140, v150, v138                             // 0000000050CC: 17191596
	v_mul_f32_e64 v186, -s46, v140                             // 0000000050D0: D10500BA 2003182E
	v_mov_b32_e32 v187, v186                                   // 0000000050D8: 7F7603BA
	v_pk_fma_f32 v[28:29], v[28:29], s[46:47], v[186:187]      // 0000000050DC: D3B0401C 1EE85D1C
	v_pk_fma_f32 v[30:31], v[30:31], s[46:47], v[186:187]      // 0000000050E4: D3B0401E 1EE85D1E
	v_exp_f32_e32 v28, v28                                     // 0000000050EC: 7E38411C
	v_exp_f32_e32 v29, v29                                     // 0000000050F0: 7E3A411D
	v_exp_f32_e32 v30, v30                                     // 0000000050F4: 7E3C411E
	v_exp_f32_e32 v31, v31                                     // 0000000050F8: 7E3E411F
	v_pk_fma_f32 v[32:33], v[32:33], s[46:47], v[186:187]      // 0000000050FC: D3B04020 1EE85D20
	v_pk_fma_f32 v[34:35], v[34:35], s[46:47], v[186:187]      // 000000005104: D3B04022 1EE85D22
	v_exp_f32_e32 v32, v32                                     // 00000000510C: 7E404120
	v_exp_f32_e32 v33, v33                                     // 000000005110: 7E424121
	v_exp_f32_e32 v34, v34                                     // 000000005114: 7E444122
	v_exp_f32_e32 v35, v35                                     // 000000005118: 7E464123
	v_pk_fma_f32 v[36:37], v[36:37], s[46:47], v[186:187]      // 00000000511C: D3B04024 1EE85D24
	v_pk_fma_f32 v[38:39], v[38:39], s[46:47], v[186:187]      // 000000005124: D3B04026 1EE85D26
	v_exp_f32_e32 v36, v36                                     // 00000000512C: 7E484124
	v_exp_f32_e32 v37, v37                                     // 000000005130: 7E4A4125
	v_exp_f32_e32 v38, v38                                     // 000000005134: 7E4C4126
	v_exp_f32_e32 v39, v39                                     // 000000005138: 7E4E4127
	v_pk_fma_f32 v[40:41], v[40:41], s[46:47], v[186:187]      // 00000000513C: D3B04028 1EE85D28
	v_pk_fma_f32 v[42:43], v[42:43], s[46:47], v[186:187]      // 000000005144: D3B0402A 1EE85D2A
	v_exp_f32_e32 v40, v40                                     // 00000000514C: 7E504128
	v_exp_f32_e32 v41, v41                                     // 000000005150: 7E524129
	v_exp_f32_e32 v42, v42                                     // 000000005154: 7E54412A
	v_exp_f32_e32 v43, v43                                     // 000000005158: 7E56412B
	v_max_f32_e32 v141, v151, v139                             // 00000000515C: 171B1797
	v_mul_f32_e64 v186, -s46, v141                             // 000000005160: D10500BA 20031A2E
	v_mov_b32_e32 v187, v186                                   // 000000005168: 7F7603BA
	v_pk_fma_f32 v[44:45], v[44:45], s[46:47], v[186:187]      // 00000000516C: D3B0402C 1EE85D2C
	v_pk_fma_f32 v[46:47], v[46:47], s[46:47], v[186:187]      // 000000005174: D3B0402E 1EE85D2E
	v_exp_f32_e32 v44, v44                                     // 00000000517C: 7E58412C
	v_exp_f32_e32 v45, v45                                     // 000000005180: 7E5A412D
	v_exp_f32_e32 v46, v46                                     // 000000005184: 7E5C412E
	v_exp_f32_e32 v47, v47                                     // 000000005188: 7E5E412F
	v_pk_fma_f32 v[48:49], v[48:49], s[46:47], v[186:187]      // 00000000518C: D3B04030 1EE85D30
	v_pk_fma_f32 v[50:51], v[50:51], s[46:47], v[186:187]      // 000000005194: D3B04032 1EE85D32
	v_exp_f32_e32 v48, v48                                     // 00000000519C: 7E604130
	v_exp_f32_e32 v49, v49                                     // 0000000051A0: 7E624131
	v_exp_f32_e32 v50, v50                                     // 0000000051A4: 7E644132
	v_exp_f32_e32 v51, v51                                     // 0000000051A8: 7E664133
	v_pk_fma_f32 v[52:53], v[52:53], s[46:47], v[186:187]      // 0000000051AC: D3B04034 1EE85D34
	v_pk_fma_f32 v[54:55], v[54:55], s[46:47], v[186:187]      // 0000000051B4: D3B04036 1EE85D36
	v_exp_f32_e32 v52, v52                                     // 0000000051BC: 7E684134
	v_exp_f32_e32 v53, v53                                     // 0000000051C0: 7E6A4135
	v_exp_f32_e32 v54, v54                                     // 0000000051C4: 7E6C4136
	v_exp_f32_e32 v55, v55                                     // 0000000051C8: 7E6E4137
	v_pk_fma_f32 v[56:57], v[56:57], s[46:47], v[186:187]      // 0000000051CC: D3B04038 1EE85D38
	v_pk_fma_f32 v[58:59], v[58:59], s[46:47], v[186:187]      // 0000000051D4: D3B0403A 1EE85D3A
	v_exp_f32_e32 v56, v56                                     // 0000000051DC: 7E704138
	v_exp_f32_e32 v57, v57                                     // 0000000051E0: 7E724139
	v_exp_f32_e32 v58, v58                                     // 0000000051E4: 7E74413A
	v_exp_f32_e32 v59, v59                                     // 0000000051E8: 7E76413B
	v_mul_f32_dpp v60, v130, v28 row_newbcast:0 row_mask:0xf bank_mask:0xf// 0000000051EC: 0A7838FA FF015082
	v_mul_f32_dpp v61, v130, v29 row_newbcast:1 row_mask:0xf bank_mask:0xf// 0000000051F4: 0A7A3AFA FF015182
	v_mul_f32_dpp v62, v130, v30 row_newbcast:2 row_mask:0xf bank_mask:0xf// 0000000051FC: 0A7C3CFA FF015282
	v_mul_f32_dpp v63, v130, v31 row_newbcast:3 row_mask:0xf bank_mask:0xf// 000000005204: 0A7E3EFA FF015382
	v_mul_f32_dpp v64, v130, v32 row_newbcast:4 row_mask:0xf bank_mask:0xf// 00000000520C: 0A8040FA FF015482
	v_mul_f32_dpp v65, v130, v33 row_newbcast:5 row_mask:0xf bank_mask:0xf// 000000005214: 0A8242FA FF015582
	v_mul_f32_dpp v66, v130, v34 row_newbcast:6 row_mask:0xf bank_mask:0xf// 00000000521C: 0A8444FA FF015682
	v_mul_f32_dpp v67, v130, v35 row_newbcast:7 row_mask:0xf bank_mask:0xf// 000000005224: 0A8646FA FF015782
	v_mul_f32_dpp v68, v130, v36 row_newbcast:8 row_mask:0xf bank_mask:0xf// 00000000522C: 0A8848FA FF015882
	v_mul_f32_dpp v69, v130, v37 row_newbcast:9 row_mask:0xf bank_mask:0xf// 000000005234: 0A8A4AFA FF015982
	v_mul_f32_dpp v70, v130, v38 row_newbcast:10 row_mask:0xf bank_mask:0xf// 00000000523C: 0A8C4CFA FF015A82
	v_mul_f32_dpp v71, v130, v39 row_newbcast:11 row_mask:0xf bank_mask:0xf// 000000005244: 0A8E4EFA FF015B82
	v_mul_f32_dpp v72, v130, v40 row_newbcast:12 row_mask:0xf bank_mask:0xf// 00000000524C: 0A9050FA FF015C82
	v_mul_f32_dpp v73, v130, v41 row_newbcast:13 row_mask:0xf bank_mask:0xf// 000000005254: 0A9252FA FF015D82
	v_mul_f32_dpp v74, v130, v42 row_newbcast:14 row_mask:0xf bank_mask:0xf// 00000000525C: 0A9454FA FF015E82
	v_mul_f32_dpp v75, v130, v43 row_newbcast:15 row_mask:0xf bank_mask:0xf// 000000005264: 0A9656FA FF015F82
	v_mul_f32_dpp v76, v130, v44 row_newbcast:0 row_mask:0xf bank_mask:0xf// 00000000526C: 0A9858FA FF015082
	v_mul_f32_dpp v77, v130, v45 row_newbcast:1 row_mask:0xf bank_mask:0xf// 000000005274: 0A9A5AFA FF015182
	v_mul_f32_dpp v78, v130, v46 row_newbcast:2 row_mask:0xf bank_mask:0xf// 00000000527C: 0A9C5CFA FF015282
	v_mul_f32_dpp v79, v130, v47 row_newbcast:3 row_mask:0xf bank_mask:0xf// 000000005284: 0A9E5EFA FF015382
	v_mul_f32_dpp v80, v130, v48 row_newbcast:4 row_mask:0xf bank_mask:0xf// 00000000528C: 0AA060FA FF015482
	v_mul_f32_dpp v81, v130, v49 row_newbcast:5 row_mask:0xf bank_mask:0xf// 000000005294: 0AA262FA FF015582
	v_mul_f32_dpp v82, v130, v50 row_newbcast:6 row_mask:0xf bank_mask:0xf// 00000000529C: 0AA464FA FF015682
	v_mul_f32_dpp v83, v130, v51 row_newbcast:7 row_mask:0xf bank_mask:0xf// 0000000052A4: 0AA666FA FF015782
	v_mul_f32_dpp v84, v130, v52 row_newbcast:8 row_mask:0xf bank_mask:0xf// 0000000052AC: 0AA868FA FF015882
	v_mul_f32_dpp v85, v130, v53 row_newbcast:9 row_mask:0xf bank_mask:0xf// 0000000052B4: 0AAA6AFA FF015982
	v_mul_f32_dpp v86, v130, v54 row_newbcast:10 row_mask:0xf bank_mask:0xf// 0000000052BC: 0AAC6CFA FF015A82
	v_mul_f32_dpp v87, v130, v55 row_newbcast:11 row_mask:0xf bank_mask:0xf// 0000000052C4: 0AAE6EFA FF015B82
	v_mul_f32_dpp v88, v130, v56 row_newbcast:12 row_mask:0xf bank_mask:0xf// 0000000052CC: 0AB070FA FF015C82
	v_mul_f32_dpp v89, v130, v57 row_newbcast:13 row_mask:0xf bank_mask:0xf// 0000000052D4: 0AB272FA FF015D82
	v_mul_f32_dpp v90, v130, v58 row_newbcast:14 row_mask:0xf bank_mask:0xf// 0000000052DC: 0AB474FA FF015E82
	v_mul_f32_dpp v91, v130, v59 row_newbcast:15 row_mask:0xf bank_mask:0xf// 0000000052E4: 0AB676FA FF015F82
	buffer_load_dword v129, v208, s[20:23], 0 offen            // 0000000052EC: E0501000 800581D0
	v_sub_f32_e32 v142, v138, v140                             // 0000000052F4: 051D198A
	v_cmp_eq_u32_e64 s[98:99], v197, v138                      // 0000000052F8: D0CA0062 000315C5
	v_cndmask_b32_e64 v142, v142, 0, s[98:99]                  // 000000005300: D100008E 0189018E
	v_mov_b32_e32 v138, v140                                   // 000000005308: 7F14038C
	v_mul_f32_e32 v142, s46, v142                              // 00000000530C: 0B1D1C2E
	v_exp_f32_e32 v142, v142                                   // 000000005310: 7F1C418E
	v_sub_f32_e32 v144, v139, v141                             // 000000005314: 05211B8B
	v_cmp_eq_u32_e64 s[98:99], v197, v139                      // 000000005318: D0CA0062 000317C5
	v_cndmask_b32_e64 v144, v144, 0, s[98:99]                  // 000000005320: D1000090 01890190
	v_mov_b32_e32 v139, v141                                   // 000000005328: 7F16038D
	v_mul_f32_e32 v144, s46, v144                              // 00000000532C: 0B21202E
	v_exp_f32_e32 v144, v144                                   // 000000005330: 7F204190
	v_mov_b32_e32 v143, v142                                   // 000000005334: 7F1E038E
	v_mov_b32_e32 v145, v144                                   // 000000005338: 7F220390
	buffer_load_dword v131, v209, s[24:27], 0 offen            // 00000000533C: E0501000 800683D1
	s_waitcnt lgkmcnt(0)                                       // 000000005344: BF8CC07F
	s_barrier                                                  // 000000005348: BF8A0000
	v_mul_f32_e32 v146, v142, v146                             // 00000000534C: 0B25258E
	v_mov_b32_e32 v147, 0                                      // 000000005350: 7F260280
	v_pk_add_f32 v[146:147], v[28:29], v[146:147]              // 000000005354: D3B24092 1803251C
	v_pk_add_f32 v[146:147], v[30:31], v[146:147]              // 00000000535C: D3B24092 1803251E
	v_pk_add_f32 v[146:147], v[32:33], v[146:147]              // 000000005364: D3B24092 18032520
	v_pk_add_f32 v[146:147], v[34:35], v[146:147]              // 00000000536C: D3B24092 18032522
	v_pk_add_f32 v[146:147], v[36:37], v[146:147]              // 000000005374: D3B24092 18032524
	v_pk_add_f32 v[146:147], v[38:39], v[146:147]              // 00000000537C: D3B24092 18032526
	v_pk_add_f32 v[146:147], v[40:41], v[146:147]              // 000000005384: D3B24092 18032528
	v_pk_add_f32 v[146:147], v[42:43], v[146:147]              // 00000000538C: D3B24092 1803252A
	v_add_f32_e32 v146, v147, v146                             // 000000005394: 03252593
	v_mul_f32_e32 v148, v144, v148                             // 000000005398: 0B292990
	v_mov_b32_e32 v149, 0                                      // 00000000539C: 7F2A0280
	v_pk_add_f32 v[148:149], v[44:45], v[148:149]              // 0000000053A0: D3B24094 1803292C
	v_pk_add_f32 v[148:149], v[46:47], v[148:149]              // 0000000053A8: D3B24094 1803292E
	v_pk_add_f32 v[148:149], v[48:49], v[148:149]              // 0000000053B0: D3B24094 18032930
	v_pk_add_f32 v[148:149], v[50:51], v[148:149]              // 0000000053B8: D3B24094 18032932
	v_pk_add_f32 v[148:149], v[52:53], v[148:149]              // 0000000053C0: D3B24094 18032934
	v_pk_add_f32 v[148:149], v[54:55], v[148:149]              // 0000000053C8: D3B24094 18032936
	v_pk_add_f32 v[148:149], v[56:57], v[148:149]              // 0000000053D0: D3B24094 18032938
	v_pk_add_f32 v[148:149], v[58:59], v[148:149]              // 0000000053D8: D3B24094 1803293A
	v_add_f32_e32 v148, v149, v148                             // 0000000053E0: 03292995
	s_waitcnt lgkmcnt(0)                                       // 0000000053E4: BF8CC07F
	v_sub_f32_e32 v150, v150, v138                             // 0000000053E8: 052D1596
	v_sub_f32_e32 v151, v151, v139                             // 0000000053EC: 052F1797
	v_mul_f32_e32 v150, s46, v150                              // 0000000053F0: 0B2D2C2E
	v_mul_f32_e32 v151, s46, v151                              // 0000000053F4: 0B2F2E2E
	v_exp_f32_e32 v150, v150                                   // 0000000053F8: 7F2C4196
	v_exp_f32_e32 v151, v151                                   // 0000000053FC: 7F2E4197
	v_mul_f32_e32 v150, v130, v150                             // 000000005400: 0B2D2D82
	v_mul_f32_e32 v151, v130, v151                             // 000000005404: 0B2F2F82
	v_add_f32_e32 v150, 0x3089705f, v150                       // 000000005408: 032D2CFF 3089705F
	v_add_f32_e32 v151, 0x3089705f, v151                       // 000000005410: 032F2EFF 3089705F
	v_rcp_f32_e32 v150, v150                                   // 000000005418: 7F2C4596
	v_rcp_f32_e32 v151, v151                                   // 00000000541C: 7F2E4597
	v_mul_f32_e32 v150, 0x43700000, v150                       // 000000005420: 0B2D2CFF 43700000
	v_mul_f32_e32 v151, 0x43700000, v151                       // 000000005428: 0B2F2EFF 43700000
	v_mov_b32_e32 v152, v151                                   // 000000005430: 7F300397
	v_mov_b32_e32 v153, v151                                   // 000000005434: 7F320397
	v_mov_b32_e32 v151, v150                                   // 000000005438: 7F2E0396
	v_pk_mul_f32 v[28:29], v[150:151], v[60:61]                // 00000000543C: D3B1401C 18027996
	v_pk_mul_f32 v[30:31], v[150:151], v[62:63]                // 000000005444: D3B1401E 18027D96
	v_pk_mul_f32 v[32:33], v[150:151], v[64:65]                // 00000000544C: D3B14020 18028196
	v_pk_mul_f32 v[34:35], v[150:151], v[66:67]                // 000000005454: D3B14022 18028596
	v_pk_mul_f32 v[36:37], v[150:151], v[68:69]                // 00000000545C: D3B14024 18028996
	v_pk_mul_f32 v[38:39], v[150:151], v[70:71]                // 000000005464: D3B14026 18028D96
	v_pk_mul_f32 v[40:41], v[150:151], v[72:73]                // 00000000546C: D3B14028 18029196
	v_pk_mul_f32 v[42:43], v[150:151], v[74:75]                // 000000005474: D3B1402A 18029596
	v_pk_mul_f32 v[44:45], v[152:153], v[76:77]                // 00000000547C: D3B1402C 18029998
	v_pk_mul_f32 v[46:47], v[152:153], v[78:79]                // 000000005484: D3B1402E 18029D98
	v_pk_mul_f32 v[48:49], v[152:153], v[80:81]                // 00000000548C: D3B14030 1802A198
	v_pk_mul_f32 v[50:51], v[152:153], v[82:83]                // 000000005494: D3B14032 1802A598
	v_pk_mul_f32 v[52:53], v[152:153], v[84:85]                // 00000000549C: D3B14034 1802A998
	v_pk_mul_f32 v[54:55], v[152:153], v[86:87]                // 0000000054A4: D3B14036 1802AD98
	v_pk_mul_f32 v[56:57], v[152:153], v[88:89]                // 0000000054AC: D3B14038 1802B198
	v_pk_mul_f32 v[58:59], v[152:153], v[90:91]                // 0000000054B4: D3B1403A 1802B598
	v_cvt_pk_fp8_f32 v28, v28, v29                             // 0000000054BC: D2A2001C 00023B1C
	v_cvt_pk_fp8_f32 v28, v30, v31 op_sel:[0,0,1]              // 0000000054C4: D2A2401C 00023F1E
	v_cvt_pk_fp8_f32 v29, v32, v33                             // 0000000054CC: D2A2001D 00024320
	v_cvt_pk_fp8_f32 v29, v34, v35 op_sel:[0,0,1]              // 0000000054D4: D2A2401D 00024722
	v_cvt_pk_fp8_f32 v30, v36, v37                             // 0000000054DC: D2A2001E 00024B24
	v_cvt_pk_fp8_f32 v30, v38, v39 op_sel:[0,0,1]              // 0000000054E4: D2A2401E 00024F26
	v_cvt_pk_fp8_f32 v31, v40, v41                             // 0000000054EC: D2A2001F 00025328
	v_cvt_pk_fp8_f32 v31, v42, v43 op_sel:[0,0,1]              // 0000000054F4: D2A2401F 0002572A
	v_cvt_pk_fp8_f32 v32, v44, v45                             // 0000000054FC: D2A20020 00025B2C
	v_cvt_pk_fp8_f32 v32, v46, v47 op_sel:[0,0,1]              // 000000005504: D2A24020 00025F2E
	v_cvt_pk_fp8_f32 v33, v48, v49                             // 00000000550C: D2A20021 00026330
	v_cvt_pk_fp8_f32 v33, v50, v51 op_sel:[0,0,1]              // 000000005514: D2A24021 00026732
	v_cvt_pk_fp8_f32 v34, v52, v53                             // 00000000551C: D2A20022 00026B34
	v_cvt_pk_fp8_f32 v34, v54, v55 op_sel:[0,0,1]              // 000000005524: D2A24022 00026F36
	v_cvt_pk_fp8_f32 v35, v56, v57                             // 00000000552C: D2A20023 00027338
	v_cvt_pk_fp8_f32 v35, v58, v59 op_sel:[0,0,1]              // 000000005534: D2A24023 0002773A
	ds_write_b32 v222, v28 offset:4608                         // 00000000553C: D81A1200 00001CDE
	ds_write_b32 v222, v29 offset:5632                         // 000000005544: D81A1600 00001DDE
	ds_write_b32 v222, v30 offset:6656                         // 00000000554C: D81A1A00 00001EDE
	ds_write_b32 v222, v31 offset:7680                         // 000000005554: D81A1E00 00001FDE
	ds_write_b32 v222, v32 offset:8704                         // 00000000555C: D81A2200 000020DE
	ds_write_b32 v222, v33 offset:9728                         // 000000005564: D81A2600 000021DE
	ds_write_b32 v222, v34 offset:10752                        // 00000000556C: D81A2A00 000022DE
	ds_write_b32 v222, v35 offset:11776                        // 000000005574: D81A2E00 000023DE
	v_rcp_f32_e32 v132, v150                                   // 00000000557C: 7F084596
	v_rcp_f32_e32 v134, v152                                   // 000000005580: 7F0C4598
	v_mov_b32_e32 v133, v132                                   // 000000005584: 7F0A0384
	v_mov_b32_e32 v135, v134                                   // 000000005588: 7F0E0386
	v_pk_add_f32 v[108:109], v[108:109], v[92:93]              // 00000000558C: D3B2406C 1802B96C
	v_pk_add_f32 v[110:111], v[110:111], v[94:95]              // 000000005594: D3B2406E 1802BD6E
	v_pk_add_f32 v[112:113], v[112:113], v[96:97]              // 00000000559C: D3B24070 1802C170
	v_pk_add_f32 v[114:115], v[114:115], v[98:99]              // 0000000055A4: D3B24072 1802C572
	v_pk_add_f32 v[116:117], v[116:117], v[100:101]            // 0000000055AC: D3B24074 1802C974
	v_pk_add_f32 v[118:119], v[118:119], v[102:103]            // 0000000055B4: D3B24076 1802CD76
	v_pk_add_f32 v[120:121], v[120:121], v[104:105]            // 0000000055BC: D3B24078 1802D178
	v_pk_add_f32 v[122:123], v[122:123], v[106:107]            // 0000000055C4: D3B2407A 1802D57A
	s_waitcnt lgkmcnt(0)                                       // 0000000055CC: BF8CC07F
	s_barrier                                                  // 0000000055D0: BF8A0000
	ds_read_b128 v[28:31], v223 offset:4608                    // 0000000055D4: D9FE1200 1C0000DF
	ds_read_b128 v[32:35], v223 offset:5632                    // 0000000055DC: D9FE1600 200000DF
	ds_read_b128 v[36:39], v223 offset:6656                    // 0000000055E4: D9FE1A00 240000DF
	ds_read_b128 v[40:43], v223 offset:7680                    // 0000000055EC: D9FE1E00 280000DF
	ds_read_b128 v[44:47], v223 offset:8704                    // 0000000055F4: D9FE2200 2C0000DF
	ds_read_b128 v[48:51], v223 offset:9728                    // 0000000055FC: D9FE2600 300000DF
	ds_read_b128 v[52:55], v223 offset:10752                   // 000000005604: D9FE2A00 340000DF
	ds_read_b128 v[56:59], v223 offset:11776                   // 00000000560C: D9FE2E00 380000DF
	s_waitcnt vmcnt(10)                                        // 000000005614: BF8C0F7A
	s_waitcnt lgkmcnt(7)                                       // 000000005618: BF8CC77F
	v_mfma_f32_16x16x32_fp8_fp8 v[92:95], a[64:65], v[28:29], 0// 00000000561C: D3F3005C 0A023940
	v_mfma_f32_16x16x32_fp8_fp8 v[96:99], a[80:81], v[28:29], 0// 000000005624: D3F30060 0A023950
	v_mfma_f32_16x16x32_fp8_fp8 v[92:95], a[66:67], v[30:31], v[92:95]// 00000000562C: D3F3005C 0D723D42
	buffer_load_dwordx4 a[96:99], v204, s[16:19], 0 offen      // 000000005634: E05C1000 808460CC
	v_mfma_f32_16x16x32_fp8_fp8 v[96:99], a[82:83], v[30:31], v[96:99]// 00000000563C: D3F30060 0D823D52
	s_waitcnt lgkmcnt(6)                                       // 000000005644: BF8CC67F
	v_mfma_f32_16x16x32_fp8_fp8 v[92:95], a[68:69], v[32:33], v[92:95]// 000000005648: D3F3005C 0D724144
	v_mfma_f32_16x16x32_fp8_fp8 v[96:99], a[84:85], v[32:33], v[96:99]// 000000005650: D3F30060 0D824154
	v_mfma_f32_16x16x32_fp8_fp8 v[92:95], a[70:71], v[34:35], v[92:95]// 000000005658: D3F3005C 0D724546
	buffer_load_dwordx4 a[100:103], v205, s[16:19], 0 offen    // 000000005660: E05C1000 808464CD
	v_mfma_f32_16x16x32_fp8_fp8 v[96:99], a[86:87], v[34:35], v[96:99]// 000000005668: D3F30060 0D824556
	s_waitcnt lgkmcnt(5)                                       // 000000005670: BF8CC57F
	v_mfma_f32_16x16x32_fp8_fp8 v[92:95], a[72:73], v[36:37], v[92:95]// 000000005674: D3F3005C 0D724948
	v_mfma_f32_16x16x32_fp8_fp8 v[96:99], a[88:89], v[36:37], v[96:99]// 00000000567C: D3F30060 0D824958
	v_mfma_f32_16x16x32_fp8_fp8 v[92:95], a[74:75], v[38:39], v[92:95]// 000000005684: D3F3005C 0D724D4A
	buffer_load_dwordx4 a[104:107], v206, s[16:19], 0 offen    // 00000000568C: E05C1000 808468CE
	v_mfma_f32_16x16x32_fp8_fp8 v[96:99], a[90:91], v[38:39], v[96:99]// 000000005694: D3F30060 0D824D5A
	s_waitcnt lgkmcnt(4)                                       // 00000000569C: BF8CC47F
	v_mfma_f32_16x16x32_fp8_fp8 v[92:95], a[76:77], v[40:41], v[92:95]// 0000000056A0: D3F3005C 0D72514C
	v_mfma_f32_16x16x32_fp8_fp8 v[96:99], a[92:93], v[40:41], v[96:99]// 0000000056A8: D3F30060 0D82515C
	v_mfma_f32_16x16x32_fp8_fp8 v[92:95], a[78:79], v[42:43], v[92:95]// 0000000056B0: D3F3005C 0D72554E
	buffer_load_dwordx4 a[108:111], v207, s[16:19], 0 offen    // 0000000056B8: E05C1000 80846CCF
	v_mfma_f32_16x16x32_fp8_fp8 v[96:99], a[94:95], v[42:43], v[96:99]// 0000000056C0: D3F30060 0D82555E
	s_waitcnt lgkmcnt(3)                                       // 0000000056C8: BF8CC37F
	v_mfma_f32_16x16x32_fp8_fp8 v[100:103], a[64:65], v[44:45], 0// 0000000056CC: D3F30064 0A025940
	v_mfma_f32_16x16x32_fp8_fp8 v[104:107], a[80:81], v[44:45], 0// 0000000056D4: D3F30068 0A025950
	v_mfma_f32_16x16x32_fp8_fp8 v[100:103], a[66:67], v[46:47], v[100:103]// 0000000056DC: D3F30064 0D925D42
	buffer_load_dwordx4 a[112:115], v204, s[16:19], 0 offen offset:1024// 0000000056E4: E05C1400 808470CC
	v_mfma_f32_16x16x32_fp8_fp8 v[104:107], a[82:83], v[46:47], v[104:107]// 0000000056EC: D3F30068 0DA25D52
	s_waitcnt lgkmcnt(2)                                       // 0000000056F4: BF8CC27F
	v_mfma_f32_16x16x32_fp8_fp8 v[100:103], a[68:69], v[48:49], v[100:103]// 0000000056F8: D3F30064 0D926144
	v_mfma_f32_16x16x32_fp8_fp8 v[104:107], a[84:85], v[48:49], v[104:107]// 000000005700: D3F30068 0DA26154
	v_mfma_f32_16x16x32_fp8_fp8 v[100:103], a[70:71], v[50:51], v[100:103]// 000000005708: D3F30064 0D926546
	buffer_load_dwordx4 a[116:119], v205, s[16:19], 0 offen offset:1024// 000000005710: E05C1400 808474CD
	v_mfma_f32_16x16x32_fp8_fp8 v[104:107], a[86:87], v[50:51], v[104:107]// 000000005718: D3F30068 0DA26556
	s_waitcnt lgkmcnt(1)                                       // 000000005720: BF8CC17F
	v_mfma_f32_16x16x32_fp8_fp8 v[100:103], a[72:73], v[52:53], v[100:103]// 000000005724: D3F30064 0D926948
	v_mfma_f32_16x16x32_fp8_fp8 v[104:107], a[88:89], v[52:53], v[104:107]// 00000000572C: D3F30068 0DA26958
	v_mfma_f32_16x16x32_fp8_fp8 v[100:103], a[74:75], v[54:55], v[100:103]// 000000005734: D3F30064 0D926D4A
	buffer_load_dwordx4 a[120:123], v206, s[16:19], 0 offen offset:1024// 00000000573C: E05C1400 808478CE
	v_mfma_f32_16x16x32_fp8_fp8 v[104:107], a[90:91], v[54:55], v[104:107]// 000000005744: D3F30068 0DA26D5A
	s_waitcnt lgkmcnt(0)                                       // 00000000574C: BF8CC07F
	v_mfma_f32_16x16x32_fp8_fp8 v[100:103], a[76:77], v[56:57], v[100:103]// 000000005750: D3F30064 0D92714C
	v_mfma_f32_16x16x32_fp8_fp8 v[104:107], a[92:93], v[56:57], v[104:107]// 000000005758: D3F30068 0DA2715C
	v_mfma_f32_16x16x32_fp8_fp8 v[100:103], a[78:79], v[58:59], v[100:103]// 000000005760: D3F30064 0D92754E
	buffer_load_dwordx4 a[124:127], v207, s[16:19], 0 offen offset:1024// 000000005768: E05C1400 80847CCF
	v_mfma_f32_16x16x32_fp8_fp8 v[104:107], a[94:95], v[58:59], v[104:107]// 000000005770: D3F30068 0DA2755E
	s_addk_i32 s64, 0x100                                      // 000000005778: B7400100
	s_branch label_0C60                                        // 00000000577C: BF820000

0000000000005780 <label_0C60>:
	s_cmp_lt_i32 s64, s63                                      // 000000005780: BF043F40
	s_cbranch_scc0 label_14F0                                  // 000000005784: BF84088E
	s_waitcnt vmcnt(10)                                        // 000000005788: BF8C0F7A
	s_lshl_b32 s68, s76, 2                                     // 00000000578C: 8E44824C
	s_cmp_lt_u32 s76, s77                                      // 000000005790: BF0A4D4C
	s_cselect_b32 s68, s68, 0                                  // 000000005794: 85448044
	s_addk_i32 s76, 0x1                                        // 000000005798: B74C0001
	s_load_dword s59, s[42:43], s68                            // 00000000579C: C0000ED5 00000044
	s_waitcnt lgkmcnt(0)                                       // 0000000057A4: BF8CC07F
	s_mul_i32 s69, s59, s50                                    // 0000000057A8: 9245323B
	s_mul_i32 s71, s59, s66                                    // 0000000057AC: 9247423B
	s_mul_i32 s54, s78, s51                                    // 0000000057B0: 9236334E
	s_add_u32 s69, s69, s54                                    // 0000000057B4: 80453645
	s_mov_b32 s70, s69                                         // 0000000057B8: BEC60045
	s_mul_i32 s54, s78, 4                                      // 0000000057BC: 9236844E
	s_add_u32 s71, s71, s54                                    // 0000000057C0: 80473647
	s_add_u32 s12, s86, s69                                    // 0000000057C4: 800C4556
	s_addc_u32 s13, s87, 0                                     // 0000000057C8: 820D8057
	s_add_u32 s16, s88, s70                                    // 0000000057CC: 80104658
	s_addc_u32 s17, s89, 0                                     // 0000000057D0: 82118059
	s_add_u32 s20, s90, s71                                    // 0000000057D4: 8014475A
	s_addc_u32 s21, s91, 0                                     // 0000000057D8: 8215805B
	s_add_u32 s24, s92, s71                                    // 0000000057DC: 8018475C
	s_addc_u32 s25, s93, 0                                     // 0000000057E0: 8219805D
	v_mfma_f32_16x16x32_fp8_fp8 v[28:31], a[32:33], v[12:13], 0// 0000000057E4: D3F3001C 0A021920
	v_mfma_f32_16x16x32_fp8_fp8 v[28:31], a[34:35], v[14:15], v[28:31]// 0000000057EC: D3F3001C 0C721D22
	v_mfma_f32_16x16x32_fp8_fp8 v[28:31], a[36:37], v[16:17], v[28:31]// 0000000057F4: D3F3001C 0C722124
	buffer_load_dwordx4 a[0:3], v202, s[12:15], 0 offen        // 0000000057FC: E05C1000 808300CA
	v_mfma_f32_16x16x32_fp8_fp8 v[28:31], a[38:39], v[18:19], v[28:31]// 000000005804: D3F3001C 0C722526
	v_mfma_f32_16x16x32_fp8_fp8 v[32:35], a[40:41], v[12:13], 0// 00000000580C: D3F30020 0A021928
	v_mfma_f32_16x16x32_fp8_fp8 v[32:35], a[42:43], v[14:15], v[32:35]// 000000005814: D3F30020 0C821D2A
	v_mfma_f32_16x16x32_fp8_fp8 v[32:35], a[44:45], v[16:17], v[32:35]// 00000000581C: D3F30020 0C82212C
	buffer_load_dwordx4 a[4:7], v203, s[12:15], 0 offen        // 000000005824: E05C1000 808304CB
	v_mfma_f32_16x16x32_fp8_fp8 v[32:35], a[46:47], v[18:19], v[32:35]// 00000000582C: D3F30020 0C82252E
	v_mfma_f32_16x16x32_fp8_fp8 v[36:39], a[48:49], v[12:13], 0// 000000005834: D3F30024 0A021930
	v_mfma_f32_16x16x32_fp8_fp8 v[36:39], a[50:51], v[14:15], v[36:39]// 00000000583C: D3F30024 0C921D32
	v_mfma_f32_16x16x32_fp8_fp8 v[36:39], a[52:53], v[16:17], v[36:39]// 000000005844: D3F30024 0C922134
	buffer_load_dwordx4 a[8:11], v202, s[12:15], 0 offen offset:1024// 00000000584C: E05C1400 808308CA
	v_mfma_f32_16x16x32_fp8_fp8 v[36:39], a[54:55], v[18:19], v[36:39]// 000000005854: D3F30024 0C922536
	v_mfma_f32_16x16x32_fp8_fp8 v[40:43], a[56:57], v[12:13], 0// 00000000585C: D3F30028 0A021938
	v_mfma_f32_16x16x32_fp8_fp8 v[40:43], a[58:59], v[14:15], v[40:43]// 000000005864: D3F30028 0CA21D3A
	v_mfma_f32_16x16x32_fp8_fp8 v[40:43], a[60:61], v[16:17], v[40:43]// 00000000586C: D3F30028 0CA2213C
	buffer_load_dwordx4 a[12:15], v203, s[12:15], 0 offen offset:1024// 000000005874: E05C1400 80830CCB
	v_mfma_f32_16x16x32_fp8_fp8 v[40:43], a[62:63], v[18:19], v[40:43]// 00000000587C: D3F30028 0CA2253E
	v_mfma_f32_16x16x32_fp8_fp8 v[44:47], a[32:33], v[20:21], 0// 000000005884: D3F3002C 0A022920
	v_mfma_f32_16x16x32_fp8_fp8 v[44:47], a[34:35], v[22:23], v[44:47]// 00000000588C: D3F3002C 0CB22D22
	v_mfma_f32_16x16x32_fp8_fp8 v[44:47], a[36:37], v[24:25], v[44:47]// 000000005894: D3F3002C 0CB23124
	buffer_load_dwordx4 a[16:19], v202, s[12:15], 0 offen offset:2048// 00000000589C: E05C1800 808310CA
	v_mfma_f32_16x16x32_fp8_fp8 v[44:47], a[38:39], v[26:27], v[44:47]// 0000000058A4: D3F3002C 0CB23526
	v_mfma_f32_16x16x32_fp8_fp8 v[48:51], a[40:41], v[20:21], 0// 0000000058AC: D3F30030 0A022928
	v_mfma_f32_16x16x32_fp8_fp8 v[48:51], a[42:43], v[22:23], v[48:51]// 0000000058B4: D3F30030 0CC22D2A
	v_mfma_f32_16x16x32_fp8_fp8 v[48:51], a[44:45], v[24:25], v[48:51]// 0000000058BC: D3F30030 0CC2312C
	buffer_load_dwordx4 a[20:23], v203, s[12:15], 0 offen offset:2048// 0000000058C4: E05C1800 808314CB
	v_mfma_f32_16x16x32_fp8_fp8 v[48:51], a[46:47], v[26:27], v[48:51]// 0000000058CC: D3F30030 0CC2352E
	v_mfma_f32_16x16x32_fp8_fp8 v[52:55], a[48:49], v[20:21], 0// 0000000058D4: D3F30034 0A022930
	v_mfma_f32_16x16x32_fp8_fp8 v[52:55], a[50:51], v[22:23], v[52:55]// 0000000058DC: D3F30034 0CD22D32
	v_mfma_f32_16x16x32_fp8_fp8 v[52:55], a[52:53], v[24:25], v[52:55]// 0000000058E4: D3F30034 0CD23134
	buffer_load_dwordx4 a[24:27], v202, s[12:15], 0 offen offset:3072// 0000000058EC: E05C1C00 808318CA
	v_mfma_f32_16x16x32_fp8_fp8 v[52:55], a[54:55], v[26:27], v[52:55]// 0000000058F4: D3F30034 0CD23536
	v_mfma_f32_16x16x32_fp8_fp8 v[56:59], a[56:57], v[20:21], 0// 0000000058FC: D3F30038 0A022938
	v_mfma_f32_16x16x32_fp8_fp8 v[56:59], a[58:59], v[22:23], v[56:59]// 000000005904: D3F30038 0CE22D3A
	v_mfma_f32_16x16x32_fp8_fp8 v[56:59], a[60:61], v[24:25], v[56:59]// 00000000590C: D3F30038 0CE2313C
	buffer_load_dwordx4 a[28:31], v203, s[12:15], 0 offen offset:3072// 000000005914: E05C1C00 80831CCB
	v_mfma_f32_16x16x32_fp8_fp8 v[56:59], a[62:63], v[26:27], v[56:59]// 00000000591C: D3F30038 0CE2353E
	s_waitcnt vmcnt(16)                                        // 000000005924: BF8C4F70
	v_pk_mul_f32 v[28:29], v[124:125], v[28:29]                // 000000005928: D3B1401C 1802397C
	v_pk_mul_f32 v[30:31], v[124:125], v[30:31]                // 000000005930: D3B1401E 18023D7C
	v_mul_f32_dpp v28, v129, v28 row_newbcast:0 row_mask:0xf bank_mask:0xf// 000000005938: 0A3838FA FF015081
	v_mul_f32_dpp v29, v129, v29 row_newbcast:1 row_mask:0xf bank_mask:0xf// 000000005940: 0A3A3AFA FF015181
	v_mul_f32_dpp v30, v129, v30 row_newbcast:2 row_mask:0xf bank_mask:0xf// 000000005948: 0A3C3CFA FF015281
	v_mul_f32_dpp v31, v129, v31 row_newbcast:3 row_mask:0xf bank_mask:0xf// 000000005950: 0A3E3EFA FF015381
	v_pk_mul_f32 v[32:33], v[124:125], v[32:33]                // 000000005958: D3B14020 1802417C
	v_pk_mul_f32 v[34:35], v[124:125], v[34:35]                // 000000005960: D3B14022 1802457C
	v_mul_f32_dpp v32, v129, v32 row_newbcast:4 row_mask:0xf bank_mask:0xf// 000000005968: 0A4040FA FF015481
	v_mul_f32_dpp v33, v129, v33 row_newbcast:5 row_mask:0xf bank_mask:0xf// 000000005970: 0A4242FA FF015581
	v_mul_f32_dpp v34, v129, v34 row_newbcast:6 row_mask:0xf bank_mask:0xf// 000000005978: 0A4444FA FF015681
	v_mul_f32_dpp v35, v129, v35 row_newbcast:7 row_mask:0xf bank_mask:0xf// 000000005980: 0A4646FA FF015781
	v_pk_mul_f32 v[36:37], v[124:125], v[36:37]                // 000000005988: D3B14024 1802497C
	v_pk_mul_f32 v[38:39], v[124:125], v[38:39]                // 000000005990: D3B14026 18024D7C
	v_mul_f32_dpp v36, v129, v36 row_newbcast:8 row_mask:0xf bank_mask:0xf// 000000005998: 0A4848FA FF015881
	v_mul_f32_dpp v37, v129, v37 row_newbcast:9 row_mask:0xf bank_mask:0xf// 0000000059A0: 0A4A4AFA FF015981
	v_mul_f32_dpp v38, v129, v38 row_newbcast:10 row_mask:0xf bank_mask:0xf// 0000000059A8: 0A4C4CFA FF015A81
	v_mul_f32_dpp v39, v129, v39 row_newbcast:11 row_mask:0xf bank_mask:0xf// 0000000059B0: 0A4E4EFA FF015B81
	v_pk_mul_f32 v[40:41], v[124:125], v[40:41]                // 0000000059B8: D3B14028 1802517C
	v_pk_mul_f32 v[42:43], v[124:125], v[42:43]                // 0000000059C0: D3B1402A 1802557C
	v_mul_f32_dpp v40, v129, v40 row_newbcast:12 row_mask:0xf bank_mask:0xf// 0000000059C8: 0A5050FA FF015C81
	v_mul_f32_dpp v41, v129, v41 row_newbcast:13 row_mask:0xf bank_mask:0xf// 0000000059D0: 0A5252FA FF015D81
	v_mul_f32_dpp v42, v129, v42 row_newbcast:14 row_mask:0xf bank_mask:0xf// 0000000059D8: 0A5454FA FF015E81
	v_mul_f32_dpp v43, v129, v43 row_newbcast:15 row_mask:0xf bank_mask:0xf// 0000000059E0: 0A5656FA FF015F81
	v_pk_mul_f32 v[44:45], v[126:127], v[44:45]                // 0000000059E8: D3B1402C 1802597E
	v_pk_mul_f32 v[46:47], v[126:127], v[46:47]                // 0000000059F0: D3B1402E 18025D7E
	v_mul_f32_dpp v44, v129, v44 row_newbcast:0 row_mask:0xf bank_mask:0xf// 0000000059F8: 0A5858FA FF015081
	v_mul_f32_dpp v45, v129, v45 row_newbcast:1 row_mask:0xf bank_mask:0xf// 000000005A00: 0A5A5AFA FF015181
	v_mul_f32_dpp v46, v129, v46 row_newbcast:2 row_mask:0xf bank_mask:0xf// 000000005A08: 0A5C5CFA FF015281
	v_mul_f32_dpp v47, v129, v47 row_newbcast:3 row_mask:0xf bank_mask:0xf// 000000005A10: 0A5E5EFA FF015381
	v_pk_mul_f32 v[48:49], v[126:127], v[48:49]                // 000000005A18: D3B14030 1802617E
	v_pk_mul_f32 v[50:51], v[126:127], v[50:51]                // 000000005A20: D3B14032 1802657E
	v_mul_f32_dpp v48, v129, v48 row_newbcast:4 row_mask:0xf bank_mask:0xf// 000000005A28: 0A6060FA FF015481
	v_mul_f32_dpp v49, v129, v49 row_newbcast:5 row_mask:0xf bank_mask:0xf// 000000005A30: 0A6262FA FF015581
	v_mul_f32_dpp v50, v129, v50 row_newbcast:6 row_mask:0xf bank_mask:0xf// 000000005A38: 0A6464FA FF015681
	v_mul_f32_dpp v51, v129, v51 row_newbcast:7 row_mask:0xf bank_mask:0xf// 000000005A40: 0A6666FA FF015781
	v_pk_mul_f32 v[52:53], v[126:127], v[52:53]                // 000000005A48: D3B14034 1802697E
	v_pk_mul_f32 v[54:55], v[126:127], v[54:55]                // 000000005A50: D3B14036 18026D7E
	v_mul_f32_dpp v52, v129, v52 row_newbcast:8 row_mask:0xf bank_mask:0xf// 000000005A58: 0A6868FA FF015881
	v_mul_f32_dpp v53, v129, v53 row_newbcast:9 row_mask:0xf bank_mask:0xf// 000000005A60: 0A6A6AFA FF015981
	v_mul_f32_dpp v54, v129, v54 row_newbcast:10 row_mask:0xf bank_mask:0xf// 000000005A68: 0A6C6CFA FF015A81
	v_mul_f32_dpp v55, v129, v55 row_newbcast:11 row_mask:0xf bank_mask:0xf// 000000005A70: 0A6E6EFA FF015B81
	v_pk_mul_f32 v[56:57], v[126:127], v[56:57]                // 000000005A78: D3B14038 1802717E
	v_pk_mul_f32 v[58:59], v[126:127], v[58:59]                // 000000005A80: D3B1403A 1802757E
	v_mul_f32_dpp v56, v129, v56 row_newbcast:12 row_mask:0xf bank_mask:0xf// 000000005A88: 0A7070FA FF015C81
	v_mul_f32_dpp v57, v129, v57 row_newbcast:13 row_mask:0xf bank_mask:0xf// 000000005A90: 0A7272FA FF015D81
	v_mul_f32_dpp v58, v129, v58 row_newbcast:14 row_mask:0xf bank_mask:0xf// 000000005A98: 0A7474FA FF015E81
	v_mul_f32_dpp v59, v129, v59 row_newbcast:15 row_mask:0xf bank_mask:0xf// 000000005AA0: 0A7676FA FF015F81
	v_mov_b32_e32 v150, v28                                    // 000000005AA8: 7F2C031C
	v_max3_f32 v150, v28, v29, v150                            // 000000005AAC: D1D30096 065A3B1C
	v_max3_f32 v150, v30, v31, v150                            // 000000005AB4: D1D30096 065A3F1E
	v_max3_f32 v150, v32, v33, v150                            // 000000005ABC: D1D30096 065A4320
	v_max3_f32 v150, v34, v35, v150                            // 000000005AC4: D1D30096 065A4722
	v_max3_f32 v150, v36, v37, v150                            // 000000005ACC: D1D30096 065A4B24
	v_max3_f32 v150, v38, v39, v150                            // 000000005AD4: D1D30096 065A4F26
	v_max3_f32 v150, v40, v41, v150                            // 000000005ADC: D1D30096 065A5328
	v_max3_f32 v150, v42, v43, v150                            // 000000005AE4: D1D30096 065A572A
	v_mov_b32_e32 v151, v44                                    // 000000005AEC: 7F2E032C
	v_max3_f32 v151, v44, v45, v151                            // 000000005AF0: D1D30097 065E5B2C
	v_max3_f32 v151, v46, v47, v151                            // 000000005AF8: D1D30097 065E5F2E
	v_max3_f32 v151, v48, v49, v151                            // 000000005B00: D1D30097 065E6330
	v_max3_f32 v151, v50, v51, v151                            // 000000005B08: D1D30097 065E6732
	v_max3_f32 v151, v52, v53, v151                            // 000000005B10: D1D30097 065E6B34
	v_max3_f32 v151, v54, v55, v151                            // 000000005B18: D1D30097 065E6F36
	v_max3_f32 v151, v56, v57, v151                            // 000000005B20: D1D30097 065E7338
	v_max3_f32 v151, v58, v59, v151                            // 000000005B28: D1D30097 065E773A
	ds_write_b64 v220, v[150:151]                              // 000000005B30: D89A0000 000096DC
	v_pk_mul_f32 v[108:109], v[142:143], v[108:109]            // 000000005B38: D3B1406C 1802D98E
	v_pk_mul_f32 v[110:111], v[142:143], v[110:111]            // 000000005B40: D3B1406E 1802DD8E
	v_pk_mul_f32 v[112:113], v[142:143], v[112:113]            // 000000005B48: D3B14070 1802E18E
	v_pk_mul_f32 v[114:115], v[142:143], v[114:115]            // 000000005B50: D3B14072 1802E58E
	v_pk_mul_f32 v[116:117], v[144:145], v[116:117]            // 000000005B58: D3B14074 1802E990
	v_pk_mul_f32 v[118:119], v[144:145], v[118:119]            // 000000005B60: D3B14076 1802ED90
	v_pk_mul_f32 v[120:121], v[144:145], v[120:121]            // 000000005B68: D3B14078 1802F190
	v_pk_mul_f32 v[122:123], v[144:145], v[122:123]            // 000000005B70: D3B1407A 1802F590
	s_waitcnt lgkmcnt(0)                                       // 000000005B78: BF8CC07F
	s_barrier                                                  // 000000005B7C: BF8A0000
	v_pk_mul_f32 v[92:93], v[132:133], v[92:93]                // 000000005B80: D3B1405C 1802B984
	v_pk_mul_f32 v[94:95], v[132:133], v[94:95]                // 000000005B88: D3B1405E 1802BD84
	v_pk_mul_f32 v[96:97], v[132:133], v[96:97]                // 000000005B90: D3B14060 1802C184
	v_pk_mul_f32 v[98:99], v[132:133], v[98:99]                // 000000005B98: D3B14062 1802C584
	v_pk_mul_f32 v[100:101], v[134:135], v[100:101]            // 000000005BA0: D3B14064 1802C986
	v_pk_mul_f32 v[102:103], v[134:135], v[102:103]            // 000000005BA8: D3B14066 1802CD86
	v_pk_mul_f32 v[104:105], v[134:135], v[104:105]            // 000000005BB0: D3B14068 1802D186
	v_pk_mul_f32 v[106:107], v[134:135], v[106:107]            // 000000005BB8: D3B1406A 1802D586
	ds_read_b64 v[154:155], v221                               // 000000005BC0: D8EC0000 9A0000DD
	ds_read_b64 v[156:157], v221 offset:128                    // 000000005BC8: D8EC0080 9C0000DD
	ds_read_b64 v[158:159], v221 offset:256                    // 000000005BD0: D8EC0100 9E0000DD
	ds_read_b64 v[160:161], v221 offset:384                    // 000000005BD8: D8EC0180 A00000DD
	ds_read_b64 v[162:163], v221 offset:512                    // 000000005BE0: D8EC0200 A20000DD
	ds_read_b64 v[164:165], v221 offset:640                    // 000000005BE8: D8EC0280 A40000DD
	ds_read_b64 v[166:167], v221 offset:768                    // 000000005BF0: D8EC0300 A60000DD
	ds_read_b64 v[168:169], v221 offset:896                    // 000000005BF8: D8EC0380 A80000DD
	ds_read_b64 v[170:171], v221 offset:1024                   // 000000005C00: D8EC0400 AA0000DD
	ds_read_b64 v[172:173], v221 offset:1152                   // 000000005C08: D8EC0480 AC0000DD
	ds_read_b64 v[174:175], v221 offset:1280                   // 000000005C10: D8EC0500 AE0000DD
	ds_read_b64 v[176:177], v221 offset:1408                   // 000000005C18: D8EC0580 B00000DD
	ds_read_b64 v[178:179], v221 offset:1536                   // 000000005C20: D8EC0600 B20000DD
	ds_read_b64 v[180:181], v221 offset:1664                   // 000000005C28: D8EC0680 B40000DD
	ds_read_b64 v[182:183], v221 offset:1792                   // 000000005C30: D8EC0700 B60000DD
	ds_read_b64 v[184:185], v221 offset:1920                   // 000000005C38: D8EC0780 B80000DD
	s_waitcnt lgkmcnt(0)                                       // 000000005C40: BF8CC07F
	v_max3_f32 v150, v154, v156, v150                          // 000000005C44: D1D30096 065B399A
	v_max3_f32 v151, v155, v157, v151                          // 000000005C4C: D1D30097 065F3B9B
	v_max3_f32 v150, v158, v160, v150                          // 000000005C54: D1D30096 065B419E
	v_max3_f32 v151, v159, v161, v151                          // 000000005C5C: D1D30097 065F439F
	v_max3_f32 v150, v162, v164, v150                          // 000000005C64: D1D30096 065B49A2
	v_max3_f32 v151, v163, v165, v151                          // 000000005C6C: D1D30097 065F4BA3
	v_max3_f32 v150, v166, v168, v150                          // 000000005C74: D1D30096 065B51A6
	v_max3_f32 v151, v167, v169, v151                          // 000000005C7C: D1D30097 065F53A7
	v_max3_f32 v150, v170, v172, v150                          // 000000005C84: D1D30096 065B59AA
	v_max3_f32 v151, v171, v173, v151                          // 000000005C8C: D1D30097 065F5BAB
	v_max3_f32 v150, v174, v176, v150                          // 000000005C94: D1D30096 065B61AE
	v_max3_f32 v151, v175, v177, v151                          // 000000005C9C: D1D30097 065F63AF
	v_max3_f32 v150, v178, v180, v150                          // 000000005CA4: D1D30096 065B69B2
	v_max3_f32 v151, v179, v181, v151                          // 000000005CAC: D1D30097 065F6BB3
	v_max3_f32 v150, v182, v184, v150                          // 000000005CB4: D1D30096 065B71B6
	v_max3_f32 v151, v183, v185, v151                          // 000000005CBC: D1D30097 065F73B7
	v_max_f32_e32 v140, v150, v138                             // 000000005CC4: 17191596
	v_mul_f32_e64 v186, -s46, v140                             // 000000005CC8: D10500BA 2003182E
	v_mov_b32_e32 v187, v186                                   // 000000005CD0: 7F7603BA
	v_pk_fma_f32 v[28:29], v[28:29], s[46:47], v[186:187]      // 000000005CD4: D3B0401C 1EE85D1C
	v_pk_fma_f32 v[30:31], v[30:31], s[46:47], v[186:187]      // 000000005CDC: D3B0401E 1EE85D1E
	v_exp_f32_e32 v28, v28                                     // 000000005CE4: 7E38411C
	v_exp_f32_e32 v29, v29                                     // 000000005CE8: 7E3A411D
	v_exp_f32_e32 v30, v30                                     // 000000005CEC: 7E3C411E
	v_exp_f32_e32 v31, v31                                     // 000000005CF0: 7E3E411F
	v_pk_fma_f32 v[32:33], v[32:33], s[46:47], v[186:187]      // 000000005CF4: D3B04020 1EE85D20
	v_pk_fma_f32 v[34:35], v[34:35], s[46:47], v[186:187]      // 000000005CFC: D3B04022 1EE85D22
	v_exp_f32_e32 v32, v32                                     // 000000005D04: 7E404120
	v_exp_f32_e32 v33, v33                                     // 000000005D08: 7E424121
	v_exp_f32_e32 v34, v34                                     // 000000005D0C: 7E444122
	v_exp_f32_e32 v35, v35                                     // 000000005D10: 7E464123
	v_pk_fma_f32 v[36:37], v[36:37], s[46:47], v[186:187]      // 000000005D14: D3B04024 1EE85D24
	v_pk_fma_f32 v[38:39], v[38:39], s[46:47], v[186:187]      // 000000005D1C: D3B04026 1EE85D26
	v_exp_f32_e32 v36, v36                                     // 000000005D24: 7E484124
	v_exp_f32_e32 v37, v37                                     // 000000005D28: 7E4A4125
	v_exp_f32_e32 v38, v38                                     // 000000005D2C: 7E4C4126
	v_exp_f32_e32 v39, v39                                     // 000000005D30: 7E4E4127
	v_pk_fma_f32 v[40:41], v[40:41], s[46:47], v[186:187]      // 000000005D34: D3B04028 1EE85D28
	v_pk_fma_f32 v[42:43], v[42:43], s[46:47], v[186:187]      // 000000005D3C: D3B0402A 1EE85D2A
	v_exp_f32_e32 v40, v40                                     // 000000005D44: 7E504128
	v_exp_f32_e32 v41, v41                                     // 000000005D48: 7E524129
	v_exp_f32_e32 v42, v42                                     // 000000005D4C: 7E54412A
	v_exp_f32_e32 v43, v43                                     // 000000005D50: 7E56412B
	v_max_f32_e32 v141, v151, v139                             // 000000005D54: 171B1797
	v_mul_f32_e64 v186, -s46, v141                             // 000000005D58: D10500BA 20031A2E
	v_mov_b32_e32 v187, v186                                   // 000000005D60: 7F7603BA
	v_pk_fma_f32 v[44:45], v[44:45], s[46:47], v[186:187]      // 000000005D64: D3B0402C 1EE85D2C
	v_pk_fma_f32 v[46:47], v[46:47], s[46:47], v[186:187]      // 000000005D6C: D3B0402E 1EE85D2E
	v_exp_f32_e32 v44, v44                                     // 000000005D74: 7E58412C
	v_exp_f32_e32 v45, v45                                     // 000000005D78: 7E5A412D
	v_exp_f32_e32 v46, v46                                     // 000000005D7C: 7E5C412E
	v_exp_f32_e32 v47, v47                                     // 000000005D80: 7E5E412F
	v_pk_fma_f32 v[48:49], v[48:49], s[46:47], v[186:187]      // 000000005D84: D3B04030 1EE85D30
	v_pk_fma_f32 v[50:51], v[50:51], s[46:47], v[186:187]      // 000000005D8C: D3B04032 1EE85D32
	v_exp_f32_e32 v48, v48                                     // 000000005D94: 7E604130
	v_exp_f32_e32 v49, v49                                     // 000000005D98: 7E624131
	v_exp_f32_e32 v50, v50                                     // 000000005D9C: 7E644132
	v_exp_f32_e32 v51, v51                                     // 000000005DA0: 7E664133
	v_pk_fma_f32 v[52:53], v[52:53], s[46:47], v[186:187]      // 000000005DA4: D3B04034 1EE85D34
	v_pk_fma_f32 v[54:55], v[54:55], s[46:47], v[186:187]      // 000000005DAC: D3B04036 1EE85D36
	v_exp_f32_e32 v52, v52                                     // 000000005DB4: 7E684134
	v_exp_f32_e32 v53, v53                                     // 000000005DB8: 7E6A4135
	v_exp_f32_e32 v54, v54                                     // 000000005DBC: 7E6C4136
	v_exp_f32_e32 v55, v55                                     // 000000005DC0: 7E6E4137
	v_pk_fma_f32 v[56:57], v[56:57], s[46:47], v[186:187]      // 000000005DC4: D3B04038 1EE85D38
	v_pk_fma_f32 v[58:59], v[58:59], s[46:47], v[186:187]      // 000000005DCC: D3B0403A 1EE85D3A
	v_exp_f32_e32 v56, v56                                     // 000000005DD4: 7E704138
	v_exp_f32_e32 v57, v57                                     // 000000005DD8: 7E724139
	v_exp_f32_e32 v58, v58                                     // 000000005DDC: 7E74413A
	v_exp_f32_e32 v59, v59                                     // 000000005DE0: 7E76413B
	v_mul_f32_dpp v60, v131, v28 row_newbcast:0 row_mask:0xf bank_mask:0xf// 000000005DE4: 0A7838FA FF015083
	v_mul_f32_dpp v61, v131, v29 row_newbcast:1 row_mask:0xf bank_mask:0xf// 000000005DEC: 0A7A3AFA FF015183
	v_mul_f32_dpp v62, v131, v30 row_newbcast:2 row_mask:0xf bank_mask:0xf// 000000005DF4: 0A7C3CFA FF015283
	v_mul_f32_dpp v63, v131, v31 row_newbcast:3 row_mask:0xf bank_mask:0xf// 000000005DFC: 0A7E3EFA FF015383
	v_mul_f32_dpp v64, v131, v32 row_newbcast:4 row_mask:0xf bank_mask:0xf// 000000005E04: 0A8040FA FF015483
	v_mul_f32_dpp v65, v131, v33 row_newbcast:5 row_mask:0xf bank_mask:0xf// 000000005E0C: 0A8242FA FF015583
	v_mul_f32_dpp v66, v131, v34 row_newbcast:6 row_mask:0xf bank_mask:0xf// 000000005E14: 0A8444FA FF015683
	v_mul_f32_dpp v67, v131, v35 row_newbcast:7 row_mask:0xf bank_mask:0xf// 000000005E1C: 0A8646FA FF015783
	v_mul_f32_dpp v68, v131, v36 row_newbcast:8 row_mask:0xf bank_mask:0xf// 000000005E24: 0A8848FA FF015883
	v_mul_f32_dpp v69, v131, v37 row_newbcast:9 row_mask:0xf bank_mask:0xf// 000000005E2C: 0A8A4AFA FF015983
	v_mul_f32_dpp v70, v131, v38 row_newbcast:10 row_mask:0xf bank_mask:0xf// 000000005E34: 0A8C4CFA FF015A83
	v_mul_f32_dpp v71, v131, v39 row_newbcast:11 row_mask:0xf bank_mask:0xf// 000000005E3C: 0A8E4EFA FF015B83
	v_mul_f32_dpp v72, v131, v40 row_newbcast:12 row_mask:0xf bank_mask:0xf// 000000005E44: 0A9050FA FF015C83
	v_mul_f32_dpp v73, v131, v41 row_newbcast:13 row_mask:0xf bank_mask:0xf// 000000005E4C: 0A9252FA FF015D83
	v_mul_f32_dpp v74, v131, v42 row_newbcast:14 row_mask:0xf bank_mask:0xf// 000000005E54: 0A9454FA FF015E83
	v_mul_f32_dpp v75, v131, v43 row_newbcast:15 row_mask:0xf bank_mask:0xf// 000000005E5C: 0A9656FA FF015F83
	v_mul_f32_dpp v76, v131, v44 row_newbcast:0 row_mask:0xf bank_mask:0xf// 000000005E64: 0A9858FA FF015083
	v_mul_f32_dpp v77, v131, v45 row_newbcast:1 row_mask:0xf bank_mask:0xf// 000000005E6C: 0A9A5AFA FF015183
	v_mul_f32_dpp v78, v131, v46 row_newbcast:2 row_mask:0xf bank_mask:0xf// 000000005E74: 0A9C5CFA FF015283
	v_mul_f32_dpp v79, v131, v47 row_newbcast:3 row_mask:0xf bank_mask:0xf// 000000005E7C: 0A9E5EFA FF015383
	v_mul_f32_dpp v80, v131, v48 row_newbcast:4 row_mask:0xf bank_mask:0xf// 000000005E84: 0AA060FA FF015483
	v_mul_f32_dpp v81, v131, v49 row_newbcast:5 row_mask:0xf bank_mask:0xf// 000000005E8C: 0AA262FA FF015583
	v_mul_f32_dpp v82, v131, v50 row_newbcast:6 row_mask:0xf bank_mask:0xf// 000000005E94: 0AA464FA FF015683
	v_mul_f32_dpp v83, v131, v51 row_newbcast:7 row_mask:0xf bank_mask:0xf// 000000005E9C: 0AA666FA FF015783
	v_mul_f32_dpp v84, v131, v52 row_newbcast:8 row_mask:0xf bank_mask:0xf// 000000005EA4: 0AA868FA FF015883
	v_mul_f32_dpp v85, v131, v53 row_newbcast:9 row_mask:0xf bank_mask:0xf// 000000005EAC: 0AAA6AFA FF015983
	v_mul_f32_dpp v86, v131, v54 row_newbcast:10 row_mask:0xf bank_mask:0xf// 000000005EB4: 0AAC6CFA FF015A83
	v_mul_f32_dpp v87, v131, v55 row_newbcast:11 row_mask:0xf bank_mask:0xf// 000000005EBC: 0AAE6EFA FF015B83
	v_mul_f32_dpp v88, v131, v56 row_newbcast:12 row_mask:0xf bank_mask:0xf// 000000005EC4: 0AB070FA FF015C83
	v_mul_f32_dpp v89, v131, v57 row_newbcast:13 row_mask:0xf bank_mask:0xf// 000000005ECC: 0AB272FA FF015D83
	v_mul_f32_dpp v90, v131, v58 row_newbcast:14 row_mask:0xf bank_mask:0xf// 000000005ED4: 0AB474FA FF015E83
	v_mul_f32_dpp v91, v131, v59 row_newbcast:15 row_mask:0xf bank_mask:0xf// 000000005EDC: 0AB676FA FF015F83
	buffer_load_dword v128, v208, s[20:23], 0 offen            // 000000005EE4: E0501000 800580D0
	v_sub_f32_e32 v142, v138, v140                             // 000000005EEC: 051D198A
	v_cmp_eq_u32_e64 s[98:99], v197, v138                      // 000000005EF0: D0CA0062 000315C5
	v_cndmask_b32_e64 v142, v142, 0, s[98:99]                  // 000000005EF8: D100008E 0189018E
	v_mov_b32_e32 v138, v140                                   // 000000005F00: 7F14038C
	v_mul_f32_e32 v142, s46, v142                              // 000000005F04: 0B1D1C2E
	v_exp_f32_e32 v142, v142                                   // 000000005F08: 7F1C418E
	v_sub_f32_e32 v144, v139, v141                             // 000000005F0C: 05211B8B
	v_cmp_eq_u32_e64 s[98:99], v197, v139                      // 000000005F10: D0CA0062 000317C5
	v_cndmask_b32_e64 v144, v144, 0, s[98:99]                  // 000000005F18: D1000090 01890190
	v_mov_b32_e32 v139, v141                                   // 000000005F20: 7F16038D
	v_mul_f32_e32 v144, s46, v144                              // 000000005F24: 0B21202E
	v_exp_f32_e32 v144, v144                                   // 000000005F28: 7F204190
	v_mov_b32_e32 v143, v142                                   // 000000005F2C: 7F1E038E
	v_mov_b32_e32 v145, v144                                   // 000000005F30: 7F220390
	buffer_load_dword v130, v209, s[24:27], 0 offen            // 000000005F34: E0501000 800682D1
	s_waitcnt lgkmcnt(0)                                       // 000000005F3C: BF8CC07F
	s_barrier                                                  // 000000005F40: BF8A0000
	v_mul_f32_e32 v146, v142, v146                             // 000000005F44: 0B25258E
	v_mov_b32_e32 v147, 0                                      // 000000005F48: 7F260280
	v_pk_add_f32 v[146:147], v[28:29], v[146:147]              // 000000005F4C: D3B24092 1803251C
	v_pk_add_f32 v[146:147], v[30:31], v[146:147]              // 000000005F54: D3B24092 1803251E
	v_pk_add_f32 v[146:147], v[32:33], v[146:147]              // 000000005F5C: D3B24092 18032520
	v_pk_add_f32 v[146:147], v[34:35], v[146:147]              // 000000005F64: D3B24092 18032522
	v_pk_add_f32 v[146:147], v[36:37], v[146:147]              // 000000005F6C: D3B24092 18032524
	v_pk_add_f32 v[146:147], v[38:39], v[146:147]              // 000000005F74: D3B24092 18032526
	v_pk_add_f32 v[146:147], v[40:41], v[146:147]              // 000000005F7C: D3B24092 18032528
	v_pk_add_f32 v[146:147], v[42:43], v[146:147]              // 000000005F84: D3B24092 1803252A
	v_add_f32_e32 v146, v147, v146                             // 000000005F8C: 03252593
	v_mul_f32_e32 v148, v144, v148                             // 000000005F90: 0B292990
	v_mov_b32_e32 v149, 0                                      // 000000005F94: 7F2A0280
	v_pk_add_f32 v[148:149], v[44:45], v[148:149]              // 000000005F98: D3B24094 1803292C
	v_pk_add_f32 v[148:149], v[46:47], v[148:149]              // 000000005FA0: D3B24094 1803292E
	v_pk_add_f32 v[148:149], v[48:49], v[148:149]              // 000000005FA8: D3B24094 18032930
	v_pk_add_f32 v[148:149], v[50:51], v[148:149]              // 000000005FB0: D3B24094 18032932
	v_pk_add_f32 v[148:149], v[52:53], v[148:149]              // 000000005FB8: D3B24094 18032934
	v_pk_add_f32 v[148:149], v[54:55], v[148:149]              // 000000005FC0: D3B24094 18032936
	v_pk_add_f32 v[148:149], v[56:57], v[148:149]              // 000000005FC8: D3B24094 18032938
	v_pk_add_f32 v[148:149], v[58:59], v[148:149]              // 000000005FD0: D3B24094 1803293A
	v_add_f32_e32 v148, v149, v148                             // 000000005FD8: 03292995
	s_waitcnt lgkmcnt(0)                                       // 000000005FDC: BF8CC07F
	v_sub_f32_e32 v150, v150, v138                             // 000000005FE0: 052D1596
	v_sub_f32_e32 v151, v151, v139                             // 000000005FE4: 052F1797
	v_mul_f32_e32 v150, s46, v150                              // 000000005FE8: 0B2D2C2E
	v_mul_f32_e32 v151, s46, v151                              // 000000005FEC: 0B2F2E2E
	v_exp_f32_e32 v150, v150                                   // 000000005FF0: 7F2C4196
	v_exp_f32_e32 v151, v151                                   // 000000005FF4: 7F2E4197
	v_mul_f32_e32 v150, v131, v150                             // 000000005FF8: 0B2D2D83
	v_mul_f32_e32 v151, v131, v151                             // 000000005FFC: 0B2F2F83
	v_add_f32_e32 v150, 0x3089705f, v150                       // 000000006000: 032D2CFF 3089705F
	v_add_f32_e32 v151, 0x3089705f, v151                       // 000000006008: 032F2EFF 3089705F
	v_rcp_f32_e32 v150, v150                                   // 000000006010: 7F2C4596
	v_rcp_f32_e32 v151, v151                                   // 000000006014: 7F2E4597
	v_mul_f32_e32 v150, 0x43700000, v150                       // 000000006018: 0B2D2CFF 43700000
	v_mul_f32_e32 v151, 0x43700000, v151                       // 000000006020: 0B2F2EFF 43700000
	v_mov_b32_e32 v152, v151                                   // 000000006028: 7F300397
	v_mov_b32_e32 v153, v151                                   // 00000000602C: 7F320397
	v_mov_b32_e32 v151, v150                                   // 000000006030: 7F2E0396
	v_pk_mul_f32 v[28:29], v[150:151], v[60:61]                // 000000006034: D3B1401C 18027996
	v_pk_mul_f32 v[30:31], v[150:151], v[62:63]                // 00000000603C: D3B1401E 18027D96
	v_pk_mul_f32 v[32:33], v[150:151], v[64:65]                // 000000006044: D3B14020 18028196
	v_pk_mul_f32 v[34:35], v[150:151], v[66:67]                // 00000000604C: D3B14022 18028596
	v_pk_mul_f32 v[36:37], v[150:151], v[68:69]                // 000000006054: D3B14024 18028996
	v_pk_mul_f32 v[38:39], v[150:151], v[70:71]                // 00000000605C: D3B14026 18028D96
	v_pk_mul_f32 v[40:41], v[150:151], v[72:73]                // 000000006064: D3B14028 18029196
	v_pk_mul_f32 v[42:43], v[150:151], v[74:75]                // 00000000606C: D3B1402A 18029596
	v_pk_mul_f32 v[44:45], v[152:153], v[76:77]                // 000000006074: D3B1402C 18029998
	v_pk_mul_f32 v[46:47], v[152:153], v[78:79]                // 00000000607C: D3B1402E 18029D98
	v_pk_mul_f32 v[48:49], v[152:153], v[80:81]                // 000000006084: D3B14030 1802A198
	v_pk_mul_f32 v[50:51], v[152:153], v[82:83]                // 00000000608C: D3B14032 1802A598
	v_pk_mul_f32 v[52:53], v[152:153], v[84:85]                // 000000006094: D3B14034 1802A998
	v_pk_mul_f32 v[54:55], v[152:153], v[86:87]                // 00000000609C: D3B14036 1802AD98
	v_pk_mul_f32 v[56:57], v[152:153], v[88:89]                // 0000000060A4: D3B14038 1802B198
	v_pk_mul_f32 v[58:59], v[152:153], v[90:91]                // 0000000060AC: D3B1403A 1802B598
	v_cvt_pk_fp8_f32 v28, v28, v29                             // 0000000060B4: D2A2001C 00023B1C
	v_cvt_pk_fp8_f32 v28, v30, v31 op_sel:[0,0,1]              // 0000000060BC: D2A2401C 00023F1E
	v_cvt_pk_fp8_f32 v29, v32, v33                             // 0000000060C4: D2A2001D 00024320
	v_cvt_pk_fp8_f32 v29, v34, v35 op_sel:[0,0,1]              // 0000000060CC: D2A2401D 00024722
	v_cvt_pk_fp8_f32 v30, v36, v37                             // 0000000060D4: D2A2001E 00024B24
	v_cvt_pk_fp8_f32 v30, v38, v39 op_sel:[0,0,1]              // 0000000060DC: D2A2401E 00024F26
	v_cvt_pk_fp8_f32 v31, v40, v41                             // 0000000060E4: D2A2001F 00025328
	v_cvt_pk_fp8_f32 v31, v42, v43 op_sel:[0,0,1]              // 0000000060EC: D2A2401F 0002572A
	v_cvt_pk_fp8_f32 v32, v44, v45                             // 0000000060F4: D2A20020 00025B2C
	v_cvt_pk_fp8_f32 v32, v46, v47 op_sel:[0,0,1]              // 0000000060FC: D2A24020 00025F2E
	v_cvt_pk_fp8_f32 v33, v48, v49                             // 000000006104: D2A20021 00026330
	v_cvt_pk_fp8_f32 v33, v50, v51 op_sel:[0,0,1]              // 00000000610C: D2A24021 00026732
	v_cvt_pk_fp8_f32 v34, v52, v53                             // 000000006114: D2A20022 00026B34
	v_cvt_pk_fp8_f32 v34, v54, v55 op_sel:[0,0,1]              // 00000000611C: D2A24022 00026F36
	v_cvt_pk_fp8_f32 v35, v56, v57                             // 000000006124: D2A20023 00027338
	v_cvt_pk_fp8_f32 v35, v58, v59 op_sel:[0,0,1]              // 00000000612C: D2A24023 0002773A
	ds_write_b32 v222, v28 offset:4608                         // 000000006134: D81A1200 00001CDE
	ds_write_b32 v222, v29 offset:5632                         // 00000000613C: D81A1600 00001DDE
	ds_write_b32 v222, v30 offset:6656                         // 000000006144: D81A1A00 00001EDE
	ds_write_b32 v222, v31 offset:7680                         // 00000000614C: D81A1E00 00001FDE
	ds_write_b32 v222, v32 offset:8704                         // 000000006154: D81A2200 000020DE
	ds_write_b32 v222, v33 offset:9728                         // 00000000615C: D81A2600 000021DE
	ds_write_b32 v222, v34 offset:10752                        // 000000006164: D81A2A00 000022DE
	ds_write_b32 v222, v35 offset:11776                        // 00000000616C: D81A2E00 000023DE
	v_rcp_f32_e32 v132, v150                                   // 000000006174: 7F084596
	v_rcp_f32_e32 v134, v152                                   // 000000006178: 7F0C4598
	v_mov_b32_e32 v133, v132                                   // 00000000617C: 7F0A0384
	v_mov_b32_e32 v135, v134                                   // 000000006180: 7F0E0386
	v_pk_add_f32 v[108:109], v[108:109], v[92:93]              // 000000006184: D3B2406C 1802B96C
	v_pk_add_f32 v[110:111], v[110:111], v[94:95]              // 00000000618C: D3B2406E 1802BD6E
	v_pk_add_f32 v[112:113], v[112:113], v[96:97]              // 000000006194: D3B24070 1802C170
	v_pk_add_f32 v[114:115], v[114:115], v[98:99]              // 00000000619C: D3B24072 1802C572
	v_pk_add_f32 v[116:117], v[116:117], v[100:101]            // 0000000061A4: D3B24074 1802C974
	v_pk_add_f32 v[118:119], v[118:119], v[102:103]            // 0000000061AC: D3B24076 1802CD76
	v_pk_add_f32 v[120:121], v[120:121], v[104:105]            // 0000000061B4: D3B24078 1802D178
	v_pk_add_f32 v[122:123], v[122:123], v[106:107]            // 0000000061BC: D3B2407A 1802D57A
	s_waitcnt lgkmcnt(0)                                       // 0000000061C4: BF8CC07F
	s_barrier                                                  // 0000000061C8: BF8A0000
	ds_read_b128 v[28:31], v223 offset:4608                    // 0000000061CC: D9FE1200 1C0000DF
	ds_read_b128 v[32:35], v223 offset:5632                    // 0000000061D4: D9FE1600 200000DF
	ds_read_b128 v[36:39], v223 offset:6656                    // 0000000061DC: D9FE1A00 240000DF
	ds_read_b128 v[40:43], v223 offset:7680                    // 0000000061E4: D9FE1E00 280000DF
	ds_read_b128 v[44:47], v223 offset:8704                    // 0000000061EC: D9FE2200 2C0000DF
	ds_read_b128 v[48:51], v223 offset:9728                    // 0000000061F4: D9FE2600 300000DF
	ds_read_b128 v[52:55], v223 offset:10752                   // 0000000061FC: D9FE2A00 340000DF
	ds_read_b128 v[56:59], v223 offset:11776                   // 000000006204: D9FE2E00 380000DF
	s_waitcnt vmcnt(10)                                        // 00000000620C: BF8C0F7A
	s_waitcnt lgkmcnt(7)                                       // 000000006210: BF8CC77F
	v_mfma_f32_16x16x32_fp8_fp8 v[92:95], a[96:97], v[28:29], 0// 000000006214: D3F3005C 0A023960
	v_mfma_f32_16x16x32_fp8_fp8 v[96:99], a[112:113], v[28:29], 0// 00000000621C: D3F30060 0A023970
	v_mfma_f32_16x16x32_fp8_fp8 v[92:95], a[98:99], v[30:31], v[92:95]// 000000006224: D3F3005C 0D723D62
	buffer_load_dwordx4 a[64:67], v204, s[16:19], 0 offen      // 00000000622C: E05C1000 808440CC
	v_mfma_f32_16x16x32_fp8_fp8 v[96:99], a[114:115], v[30:31], v[96:99]// 000000006234: D3F30060 0D823D72
	s_waitcnt lgkmcnt(6)                                       // 00000000623C: BF8CC67F
	v_mfma_f32_16x16x32_fp8_fp8 v[92:95], a[100:101], v[32:33], v[92:95]// 000000006240: D3F3005C 0D724164
	v_mfma_f32_16x16x32_fp8_fp8 v[96:99], a[116:117], v[32:33], v[96:99]// 000000006248: D3F30060 0D824174
	v_mfma_f32_16x16x32_fp8_fp8 v[92:95], a[102:103], v[34:35], v[92:95]// 000000006250: D3F3005C 0D724566
	buffer_load_dwordx4 a[68:71], v205, s[16:19], 0 offen      // 000000006258: E05C1000 808444CD
	v_mfma_f32_16x16x32_fp8_fp8 v[96:99], a[118:119], v[34:35], v[96:99]// 000000006260: D3F30060 0D824576
	s_waitcnt lgkmcnt(5)                                       // 000000006268: BF8CC57F
	v_mfma_f32_16x16x32_fp8_fp8 v[92:95], a[104:105], v[36:37], v[92:95]// 00000000626C: D3F3005C 0D724968
	v_mfma_f32_16x16x32_fp8_fp8 v[96:99], a[120:121], v[36:37], v[96:99]// 000000006274: D3F30060 0D824978
	v_mfma_f32_16x16x32_fp8_fp8 v[92:95], a[106:107], v[38:39], v[92:95]// 00000000627C: D3F3005C 0D724D6A
	buffer_load_dwordx4 a[72:75], v206, s[16:19], 0 offen      // 000000006284: E05C1000 808448CE
	v_mfma_f32_16x16x32_fp8_fp8 v[96:99], a[122:123], v[38:39], v[96:99]// 00000000628C: D3F30060 0D824D7A
	s_waitcnt lgkmcnt(4)                                       // 000000006294: BF8CC47F
	v_mfma_f32_16x16x32_fp8_fp8 v[92:95], a[108:109], v[40:41], v[92:95]// 000000006298: D3F3005C 0D72516C
	v_mfma_f32_16x16x32_fp8_fp8 v[96:99], a[124:125], v[40:41], v[96:99]// 0000000062A0: D3F30060 0D82517C
	v_mfma_f32_16x16x32_fp8_fp8 v[92:95], a[110:111], v[42:43], v[92:95]// 0000000062A8: D3F3005C 0D72556E
	buffer_load_dwordx4 a[76:79], v207, s[16:19], 0 offen      // 0000000062B0: E05C1000 80844CCF
	v_mfma_f32_16x16x32_fp8_fp8 v[96:99], a[126:127], v[42:43], v[96:99]// 0000000062B8: D3F30060 0D82557E
	s_waitcnt lgkmcnt(3)                                       // 0000000062C0: BF8CC37F
	v_mfma_f32_16x16x32_fp8_fp8 v[100:103], a[96:97], v[44:45], 0// 0000000062C4: D3F30064 0A025960
	v_mfma_f32_16x16x32_fp8_fp8 v[104:107], a[112:113], v[44:45], 0// 0000000062CC: D3F30068 0A025970
	v_mfma_f32_16x16x32_fp8_fp8 v[100:103], a[98:99], v[46:47], v[100:103]// 0000000062D4: D3F30064 0D925D62
	buffer_load_dwordx4 a[80:83], v204, s[16:19], 0 offen offset:1024// 0000000062DC: E05C1400 808450CC
	v_mfma_f32_16x16x32_fp8_fp8 v[104:107], a[114:115], v[46:47], v[104:107]// 0000000062E4: D3F30068 0DA25D72
	s_waitcnt lgkmcnt(2)                                       // 0000000062EC: BF8CC27F
	v_mfma_f32_16x16x32_fp8_fp8 v[100:103], a[100:101], v[48:49], v[100:103]// 0000000062F0: D3F30064 0D926164
	v_mfma_f32_16x16x32_fp8_fp8 v[104:107], a[116:117], v[48:49], v[104:107]// 0000000062F8: D3F30068 0DA26174
	v_mfma_f32_16x16x32_fp8_fp8 v[100:103], a[102:103], v[50:51], v[100:103]// 000000006300: D3F30064 0D926566
	buffer_load_dwordx4 a[84:87], v205, s[16:19], 0 offen offset:1024// 000000006308: E05C1400 808454CD
	v_mfma_f32_16x16x32_fp8_fp8 v[104:107], a[118:119], v[50:51], v[104:107]// 000000006310: D3F30068 0DA26576
	s_waitcnt lgkmcnt(1)                                       // 000000006318: BF8CC17F
	v_mfma_f32_16x16x32_fp8_fp8 v[100:103], a[104:105], v[52:53], v[100:103]// 00000000631C: D3F30064 0D926968
	v_mfma_f32_16x16x32_fp8_fp8 v[104:107], a[120:121], v[52:53], v[104:107]// 000000006324: D3F30068 0DA26978
	v_mfma_f32_16x16x32_fp8_fp8 v[100:103], a[106:107], v[54:55], v[100:103]// 00000000632C: D3F30064 0D926D6A
	buffer_load_dwordx4 a[88:91], v206, s[16:19], 0 offen offset:1024// 000000006334: E05C1400 808458CE
	v_mfma_f32_16x16x32_fp8_fp8 v[104:107], a[122:123], v[54:55], v[104:107]// 00000000633C: D3F30068 0DA26D7A
	s_waitcnt lgkmcnt(0)                                       // 000000006344: BF8CC07F
	v_mfma_f32_16x16x32_fp8_fp8 v[100:103], a[108:109], v[56:57], v[100:103]// 000000006348: D3F30064 0D92716C
	v_mfma_f32_16x16x32_fp8_fp8 v[104:107], a[124:125], v[56:57], v[104:107]// 000000006350: D3F30068 0DA2717C
	v_mfma_f32_16x16x32_fp8_fp8 v[100:103], a[110:111], v[58:59], v[100:103]// 000000006358: D3F30064 0D92756E
	buffer_load_dwordx4 a[92:95], v207, s[16:19], 0 offen offset:1024// 000000006360: E05C1400 80845CCF
	v_mfma_f32_16x16x32_fp8_fp8 v[104:107], a[126:127], v[58:59], v[104:107]// 000000006368: D3F30068 0DA2757E
	s_addk_i32 s64, 0x100                                      // 000000006370: B7400100
	s_branch label_0962                                        // 000000006374: BF82FA04

0000000000006378 <label_0F5E>:
	s_cmp_lt_i32 s64, s62                                      // 000000006378: BF043E40
	s_cbranch_scc0 label_1A82                                  // 00000000637C: BF840B22
	s_waitcnt vmcnt(10)                                        // 000000006380: BF8C0F7A
	s_lshl_b32 s68, s76, 2                                     // 000000006384: 8E44824C
	s_cmp_lt_u32 s76, s77                                      // 000000006388: BF0A4D4C
	s_cselect_b32 s68, s68, 0                                  // 00000000638C: 85448044
	s_addk_i32 s76, 0x1                                        // 000000006390: B74C0001
	s_load_dword s59, s[42:43], s68                            // 000000006394: C0000ED5 00000044
	s_waitcnt lgkmcnt(0)                                       // 00000000639C: BF8CC07F
	s_mul_i32 s69, s59, s50                                    // 0000000063A0: 9245323B
	s_mul_i32 s71, s59, s66                                    // 0000000063A4: 9247423B
	s_mul_i32 s54, s78, s51                                    // 0000000063A8: 9236334E
	s_add_u32 s69, s69, s54                                    // 0000000063AC: 80453645
	s_mov_b32 s70, s69                                         // 0000000063B0: BEC60045
	s_mul_i32 s54, s78, 4                                      // 0000000063B4: 9236844E
	s_add_u32 s71, s71, s54                                    // 0000000063B8: 80473647
	s_add_u32 s12, s86, s69                                    // 0000000063BC: 800C4556
	s_addc_u32 s13, s87, 0                                     // 0000000063C0: 820D8057
	s_add_u32 s16, s88, s70                                    // 0000000063C4: 80104658
	s_addc_u32 s17, s89, 0                                     // 0000000063C8: 82118059
	s_add_u32 s20, s90, s71                                    // 0000000063CC: 8014475A
	s_addc_u32 s21, s91, 0                                     // 0000000063D0: 8215805B
	s_add_u32 s24, s92, s71                                    // 0000000063D4: 8018475C
	s_addc_u32 s25, s93, 0                                     // 0000000063D8: 8219805D
	v_mfma_f32_16x16x32_fp8_fp8 v[28:31], a[0:1], v[12:13], 0  // 0000000063DC: D3F3001C 0A021900
	v_mfma_f32_16x16x32_fp8_fp8 v[28:31], a[2:3], v[14:15], v[28:31]// 0000000063E4: D3F3001C 0C721D02
	v_mfma_f32_16x16x32_fp8_fp8 v[28:31], a[4:5], v[16:17], v[28:31]// 0000000063EC: D3F3001C 0C722104
	buffer_load_dwordx4 a[32:35], v202, s[12:15], 0 offen      // 0000000063F4: E05C1000 808320CA
	v_mfma_f32_16x16x32_fp8_fp8 v[28:31], a[6:7], v[18:19], v[28:31]// 0000000063FC: D3F3001C 0C722506
	v_mfma_f32_16x16x32_fp8_fp8 v[32:35], a[8:9], v[12:13], 0  // 000000006404: D3F30020 0A021908
	v_mfma_f32_16x16x32_fp8_fp8 v[32:35], a[10:11], v[14:15], v[32:35]// 00000000640C: D3F30020 0C821D0A
	v_mfma_f32_16x16x32_fp8_fp8 v[32:35], a[12:13], v[16:17], v[32:35]// 000000006414: D3F30020 0C82210C
	buffer_load_dwordx4 a[36:39], v203, s[12:15], 0 offen      // 00000000641C: E05C1000 808324CB
	v_mfma_f32_16x16x32_fp8_fp8 v[32:35], a[14:15], v[18:19], v[32:35]// 000000006424: D3F30020 0C82250E
	v_mfma_f32_16x16x32_fp8_fp8 v[36:39], a[16:17], v[12:13], 0// 00000000642C: D3F30024 0A021910
	v_mfma_f32_16x16x32_fp8_fp8 v[36:39], a[18:19], v[14:15], v[36:39]// 000000006434: D3F30024 0C921D12
	v_mfma_f32_16x16x32_fp8_fp8 v[36:39], a[20:21], v[16:17], v[36:39]// 00000000643C: D3F30024 0C922114
	buffer_load_dwordx4 a[40:43], v202, s[12:15], 0 offen offset:1024// 000000006444: E05C1400 808328CA
	v_mfma_f32_16x16x32_fp8_fp8 v[36:39], a[22:23], v[18:19], v[36:39]// 00000000644C: D3F30024 0C922516
	v_mfma_f32_16x16x32_fp8_fp8 v[40:43], a[24:25], v[12:13], 0// 000000006454: D3F30028 0A021918
	v_mfma_f32_16x16x32_fp8_fp8 v[40:43], a[26:27], v[14:15], v[40:43]// 00000000645C: D3F30028 0CA21D1A
	v_mfma_f32_16x16x32_fp8_fp8 v[40:43], a[28:29], v[16:17], v[40:43]// 000000006464: D3F30028 0CA2211C
	buffer_load_dwordx4 a[44:47], v203, s[12:15], 0 offen offset:1024// 00000000646C: E05C1400 80832CCB
	v_mfma_f32_16x16x32_fp8_fp8 v[40:43], a[30:31], v[18:19], v[40:43]// 000000006474: D3F30028 0CA2251E
	v_mfma_f32_16x16x32_fp8_fp8 v[44:47], a[0:1], v[20:21], 0  // 00000000647C: D3F3002C 0A022900
	v_mfma_f32_16x16x32_fp8_fp8 v[44:47], a[2:3], v[22:23], v[44:47]// 000000006484: D3F3002C 0CB22D02
	v_mfma_f32_16x16x32_fp8_fp8 v[44:47], a[4:5], v[24:25], v[44:47]// 00000000648C: D3F3002C 0CB23104
	buffer_load_dwordx4 a[48:51], v202, s[12:15], 0 offen offset:2048// 000000006494: E05C1800 808330CA
	v_mfma_f32_16x16x32_fp8_fp8 v[44:47], a[6:7], v[26:27], v[44:47]// 00000000649C: D3F3002C 0CB23506
	v_mfma_f32_16x16x32_fp8_fp8 v[48:51], a[8:9], v[20:21], 0  // 0000000064A4: D3F30030 0A022908
	v_mfma_f32_16x16x32_fp8_fp8 v[48:51], a[10:11], v[22:23], v[48:51]// 0000000064AC: D3F30030 0CC22D0A
	v_mfma_f32_16x16x32_fp8_fp8 v[48:51], a[12:13], v[24:25], v[48:51]// 0000000064B4: D3F30030 0CC2310C
	buffer_load_dwordx4 a[52:55], v203, s[12:15], 0 offen offset:2048// 0000000064BC: E05C1800 808334CB
	v_mfma_f32_16x16x32_fp8_fp8 v[48:51], a[14:15], v[26:27], v[48:51]// 0000000064C4: D3F30030 0CC2350E
	v_mfma_f32_16x16x32_fp8_fp8 v[52:55], a[16:17], v[20:21], 0// 0000000064CC: D3F30034 0A022910
	v_mfma_f32_16x16x32_fp8_fp8 v[52:55], a[18:19], v[22:23], v[52:55]// 0000000064D4: D3F30034 0CD22D12
	v_mfma_f32_16x16x32_fp8_fp8 v[52:55], a[20:21], v[24:25], v[52:55]// 0000000064DC: D3F30034 0CD23114
	buffer_load_dwordx4 a[56:59], v202, s[12:15], 0 offen offset:3072// 0000000064E4: E05C1C00 808338CA
	v_mfma_f32_16x16x32_fp8_fp8 v[52:55], a[22:23], v[26:27], v[52:55]// 0000000064EC: D3F30034 0CD23516
	v_mfma_f32_16x16x32_fp8_fp8 v[56:59], a[24:25], v[20:21], 0// 0000000064F4: D3F30038 0A022918
	v_mfma_f32_16x16x32_fp8_fp8 v[56:59], a[26:27], v[22:23], v[56:59]// 0000000064FC: D3F30038 0CE22D1A
	v_mfma_f32_16x16x32_fp8_fp8 v[56:59], a[28:29], v[24:25], v[56:59]// 000000006504: D3F30038 0CE2311C
	buffer_load_dwordx4 a[60:63], v203, s[12:15], 0 offen offset:3072// 00000000650C: E05C1C00 80833CCB
	v_mfma_f32_16x16x32_fp8_fp8 v[56:59], a[30:31], v[26:27], v[56:59]// 000000006514: D3F30038 0CE2351E
	s_waitcnt vmcnt(16)                                        // 00000000651C: BF8C4F70
	v_pk_mul_f32 v[28:29], v[124:125], v[28:29]                // 000000006520: D3B1401C 1802397C
	v_pk_mul_f32 v[30:31], v[124:125], v[30:31]                // 000000006528: D3B1401E 18023D7C
	v_mul_f32_dpp v28, v128, v28 row_newbcast:0 row_mask:0xf bank_mask:0xf// 000000006530: 0A3838FA FF015080
	v_mul_f32_dpp v29, v128, v29 row_newbcast:1 row_mask:0xf bank_mask:0xf// 000000006538: 0A3A3AFA FF015180
	v_mul_f32_dpp v30, v128, v30 row_newbcast:2 row_mask:0xf bank_mask:0xf// 000000006540: 0A3C3CFA FF015280
	v_mul_f32_dpp v31, v128, v31 row_newbcast:3 row_mask:0xf bank_mask:0xf// 000000006548: 0A3E3EFA FF015380
	v_pk_mul_f32 v[32:33], v[124:125], v[32:33]                // 000000006550: D3B14020 1802417C
	v_pk_mul_f32 v[34:35], v[124:125], v[34:35]                // 000000006558: D3B14022 1802457C
	v_mul_f32_dpp v32, v128, v32 row_newbcast:4 row_mask:0xf bank_mask:0xf// 000000006560: 0A4040FA FF015480
	v_mul_f32_dpp v33, v128, v33 row_newbcast:5 row_mask:0xf bank_mask:0xf// 000000006568: 0A4242FA FF015580
	v_mul_f32_dpp v34, v128, v34 row_newbcast:6 row_mask:0xf bank_mask:0xf// 000000006570: 0A4444FA FF015680
	v_mul_f32_dpp v35, v128, v35 row_newbcast:7 row_mask:0xf bank_mask:0xf// 000000006578: 0A4646FA FF015780
	v_pk_mul_f32 v[36:37], v[124:125], v[36:37]                // 000000006580: D3B14024 1802497C
	v_pk_mul_f32 v[38:39], v[124:125], v[38:39]                // 000000006588: D3B14026 18024D7C
	v_mul_f32_dpp v36, v128, v36 row_newbcast:8 row_mask:0xf bank_mask:0xf// 000000006590: 0A4848FA FF015880
	v_mul_f32_dpp v37, v128, v37 row_newbcast:9 row_mask:0xf bank_mask:0xf// 000000006598: 0A4A4AFA FF015980
	v_mul_f32_dpp v38, v128, v38 row_newbcast:10 row_mask:0xf bank_mask:0xf// 0000000065A0: 0A4C4CFA FF015A80
	v_mul_f32_dpp v39, v128, v39 row_newbcast:11 row_mask:0xf bank_mask:0xf// 0000000065A8: 0A4E4EFA FF015B80
	v_pk_mul_f32 v[40:41], v[124:125], v[40:41]                // 0000000065B0: D3B14028 1802517C
	v_pk_mul_f32 v[42:43], v[124:125], v[42:43]                // 0000000065B8: D3B1402A 1802557C
	v_mul_f32_dpp v40, v128, v40 row_newbcast:12 row_mask:0xf bank_mask:0xf// 0000000065C0: 0A5050FA FF015C80
	v_mul_f32_dpp v41, v128, v41 row_newbcast:13 row_mask:0xf bank_mask:0xf// 0000000065C8: 0A5252FA FF015D80
	v_mul_f32_dpp v42, v128, v42 row_newbcast:14 row_mask:0xf bank_mask:0xf// 0000000065D0: 0A5454FA FF015E80
	v_mul_f32_dpp v43, v128, v43 row_newbcast:15 row_mask:0xf bank_mask:0xf// 0000000065D8: 0A5656FA FF015F80
	v_pk_mul_f32 v[44:45], v[126:127], v[44:45]                // 0000000065E0: D3B1402C 1802597E
	v_pk_mul_f32 v[46:47], v[126:127], v[46:47]                // 0000000065E8: D3B1402E 18025D7E
	v_mul_f32_dpp v44, v128, v44 row_newbcast:0 row_mask:0xf bank_mask:0xf// 0000000065F0: 0A5858FA FF015080
	v_mul_f32_dpp v45, v128, v45 row_newbcast:1 row_mask:0xf bank_mask:0xf// 0000000065F8: 0A5A5AFA FF015180
	v_mul_f32_dpp v46, v128, v46 row_newbcast:2 row_mask:0xf bank_mask:0xf// 000000006600: 0A5C5CFA FF015280
	v_mul_f32_dpp v47, v128, v47 row_newbcast:3 row_mask:0xf bank_mask:0xf// 000000006608: 0A5E5EFA FF015380
	v_pk_mul_f32 v[48:49], v[126:127], v[48:49]                // 000000006610: D3B14030 1802617E
	v_pk_mul_f32 v[50:51], v[126:127], v[50:51]                // 000000006618: D3B14032 1802657E
	v_mul_f32_dpp v48, v128, v48 row_newbcast:4 row_mask:0xf bank_mask:0xf// 000000006620: 0A6060FA FF015480
	v_mul_f32_dpp v49, v128, v49 row_newbcast:5 row_mask:0xf bank_mask:0xf// 000000006628: 0A6262FA FF015580
	v_mul_f32_dpp v50, v128, v50 row_newbcast:6 row_mask:0xf bank_mask:0xf// 000000006630: 0A6464FA FF015680
	v_mul_f32_dpp v51, v128, v51 row_newbcast:7 row_mask:0xf bank_mask:0xf// 000000006638: 0A6666FA FF015780
	v_pk_mul_f32 v[52:53], v[126:127], v[52:53]                // 000000006640: D3B14034 1802697E
	v_pk_mul_f32 v[54:55], v[126:127], v[54:55]                // 000000006648: D3B14036 18026D7E
	v_mul_f32_dpp v52, v128, v52 row_newbcast:8 row_mask:0xf bank_mask:0xf// 000000006650: 0A6868FA FF015880
	v_mul_f32_dpp v53, v128, v53 row_newbcast:9 row_mask:0xf bank_mask:0xf// 000000006658: 0A6A6AFA FF015980
	v_mul_f32_dpp v54, v128, v54 row_newbcast:10 row_mask:0xf bank_mask:0xf// 000000006660: 0A6C6CFA FF015A80
	v_mul_f32_dpp v55, v128, v55 row_newbcast:11 row_mask:0xf bank_mask:0xf// 000000006668: 0A6E6EFA FF015B80
	v_pk_mul_f32 v[56:57], v[126:127], v[56:57]                // 000000006670: D3B14038 1802717E
	v_pk_mul_f32 v[58:59], v[126:127], v[58:59]                // 000000006678: D3B1403A 1802757E
	v_mul_f32_dpp v56, v128, v56 row_newbcast:12 row_mask:0xf bank_mask:0xf// 000000006680: 0A7070FA FF015C80
	v_mul_f32_dpp v57, v128, v57 row_newbcast:13 row_mask:0xf bank_mask:0xf// 000000006688: 0A7272FA FF015D80
	v_mul_f32_dpp v58, v128, v58 row_newbcast:14 row_mask:0xf bank_mask:0xf// 000000006690: 0A7474FA FF015E80
	v_mul_f32_dpp v59, v128, v59 row_newbcast:15 row_mask:0xf bank_mask:0xf// 000000006698: 0A7676FA FF015F80
	v_add_u32_e32 v186, s64, v196                              // 0000000066A0: 69758840
	v_add_u32_e32 v187, 0, v186                                // 0000000066A4: 69777480
	v_cmp_lt_u32_e64 s[98:99], v187, v194                      // 0000000066A8: D0C90062 000385BB
	s_nop 0                                                    // 0000000066B0: BF800000
	v_cndmask_b32_e64 v28, v197, v28, s[98:99]                 // 0000000066B4: D100001C 018A39C5
	v_add_u32_e32 v187, 1, v186                                // 0000000066BC: 69777481
	v_cmp_lt_u32_e64 s[98:99], v187, v194                      // 0000000066C0: D0C90062 000385BB
	s_nop 0                                                    // 0000000066C8: BF800000
	v_cndmask_b32_e64 v29, v197, v29, s[98:99]                 // 0000000066CC: D100001D 018A3BC5
	v_add_u32_e32 v187, 2, v186                                // 0000000066D4: 69777482
	v_cmp_lt_u32_e64 s[98:99], v187, v194                      // 0000000066D8: D0C90062 000385BB
	s_nop 0                                                    // 0000000066E0: BF800000
	v_cndmask_b32_e64 v30, v197, v30, s[98:99]                 // 0000000066E4: D100001E 018A3DC5
	v_add_u32_e32 v187, 3, v186                                // 0000000066EC: 69777483
	v_cmp_lt_u32_e64 s[98:99], v187, v194                      // 0000000066F0: D0C90062 000385BB
	s_nop 0                                                    // 0000000066F8: BF800000
	v_cndmask_b32_e64 v31, v197, v31, s[98:99]                 // 0000000066FC: D100001F 018A3FC5
	v_add_u32_e32 v187, 64, v186                               // 000000006704: 697774C0
	v_cmp_lt_u32_e64 s[98:99], v187, v194                      // 000000006708: D0C90062 000385BB
	s_nop 0                                                    // 000000006710: BF800000
	v_cndmask_b32_e64 v32, v197, v32, s[98:99]                 // 000000006714: D1000020 018A41C5
	v_add_u32_e32 v187, 0x41, v186                             // 00000000671C: 697774FF 00000041
	v_cmp_lt_u32_e64 s[98:99], v187, v194                      // 000000006724: D0C90062 000385BB
	s_nop 0                                                    // 00000000672C: BF800000
	v_cndmask_b32_e64 v33, v197, v33, s[98:99]                 // 000000006730: D1000021 018A43C5
	v_add_u32_e32 v187, 0x42, v186                             // 000000006738: 697774FF 00000042
	v_cmp_lt_u32_e64 s[98:99], v187, v194                      // 000000006740: D0C90062 000385BB
	s_nop 0                                                    // 000000006748: BF800000
	v_cndmask_b32_e64 v34, v197, v34, s[98:99]                 // 00000000674C: D1000022 018A45C5
	v_add_u32_e32 v187, 0x43, v186                             // 000000006754: 697774FF 00000043
	v_cmp_lt_u32_e64 s[98:99], v187, v194                      // 00000000675C: D0C90062 000385BB
	s_nop 0                                                    // 000000006764: BF800000
	v_cndmask_b32_e64 v35, v197, v35, s[98:99]                 // 000000006768: D1000023 018A47C5
	v_add_u32_e32 v187, 0x80, v186                             // 000000006770: 697774FF 00000080
	v_cmp_lt_u32_e64 s[98:99], v187, v194                      // 000000006778: D0C90062 000385BB
	s_nop 0                                                    // 000000006780: BF800000
	v_cndmask_b32_e64 v36, v197, v36, s[98:99]                 // 000000006784: D1000024 018A49C5
	v_add_u32_e32 v187, 0x81, v186                             // 00000000678C: 697774FF 00000081
	v_cmp_lt_u32_e64 s[98:99], v187, v194                      // 000000006794: D0C90062 000385BB
	s_nop 0                                                    // 00000000679C: BF800000
	v_cndmask_b32_e64 v37, v197, v37, s[98:99]                 // 0000000067A0: D1000025 018A4BC5
	v_add_u32_e32 v187, 0x82, v186                             // 0000000067A8: 697774FF 00000082
	v_cmp_lt_u32_e64 s[98:99], v187, v194                      // 0000000067B0: D0C90062 000385BB
	s_nop 0                                                    // 0000000067B8: BF800000
	v_cndmask_b32_e64 v38, v197, v38, s[98:99]                 // 0000000067BC: D1000026 018A4DC5
	v_add_u32_e32 v187, 0x83, v186                             // 0000000067C4: 697774FF 00000083
	v_cmp_lt_u32_e64 s[98:99], v187, v194                      // 0000000067CC: D0C90062 000385BB
	s_nop 0                                                    // 0000000067D4: BF800000
	v_cndmask_b32_e64 v39, v197, v39, s[98:99]                 // 0000000067D8: D1000027 018A4FC5
	v_add_u32_e32 v187, 0xc0, v186                             // 0000000067E0: 697774FF 000000C0
	v_cmp_lt_u32_e64 s[98:99], v187, v194                      // 0000000067E8: D0C90062 000385BB
	s_nop 0                                                    // 0000000067F0: BF800000
	v_cndmask_b32_e64 v40, v197, v40, s[98:99]                 // 0000000067F4: D1000028 018A51C5
	v_add_u32_e32 v187, 0xc1, v186                             // 0000000067FC: 697774FF 000000C1
	v_cmp_lt_u32_e64 s[98:99], v187, v194                      // 000000006804: D0C90062 000385BB
	s_nop 0                                                    // 00000000680C: BF800000
	v_cndmask_b32_e64 v41, v197, v41, s[98:99]                 // 000000006810: D1000029 018A53C5
	v_add_u32_e32 v187, 0xc2, v186                             // 000000006818: 697774FF 000000C2
	v_cmp_lt_u32_e64 s[98:99], v187, v194                      // 000000006820: D0C90062 000385BB
	s_nop 0                                                    // 000000006828: BF800000
	v_cndmask_b32_e64 v42, v197, v42, s[98:99]                 // 00000000682C: D100002A 018A55C5
	v_add_u32_e32 v187, 0xc3, v186                             // 000000006834: 697774FF 000000C3
	v_cmp_lt_u32_e64 s[98:99], v187, v194                      // 00000000683C: D0C90062 000385BB
	s_nop 0                                                    // 000000006844: BF800000
	v_cndmask_b32_e64 v43, v197, v43, s[98:99]                 // 000000006848: D100002B 018A57C5
	v_add_u32_e32 v187, 0, v186                                // 000000006850: 69777480
	v_cmp_lt_u32_e64 s[98:99], v187, v195                      // 000000006854: D0C90062 000387BB
	s_nop 0                                                    // 00000000685C: BF800000
	v_cndmask_b32_e64 v44, v197, v44, s[98:99]                 // 000000006860: D100002C 018A59C5
	v_add_u32_e32 v187, 1, v186                                // 000000006868: 69777481
	v_cmp_lt_u32_e64 s[98:99], v187, v195                      // 00000000686C: D0C90062 000387BB
	s_nop 0                                                    // 000000006874: BF800000
	v_cndmask_b32_e64 v45, v197, v45, s[98:99]                 // 000000006878: D100002D 018A5BC5
	v_add_u32_e32 v187, 2, v186                                // 000000006880: 69777482
	v_cmp_lt_u32_e64 s[98:99], v187, v195                      // 000000006884: D0C90062 000387BB
	s_nop 0                                                    // 00000000688C: BF800000
	v_cndmask_b32_e64 v46, v197, v46, s[98:99]                 // 000000006890: D100002E 018A5DC5
	v_add_u32_e32 v187, 3, v186                                // 000000006898: 69777483
	v_cmp_lt_u32_e64 s[98:99], v187, v195                      // 00000000689C: D0C90062 000387BB
	s_nop 0                                                    // 0000000068A4: BF800000
	v_cndmask_b32_e64 v47, v197, v47, s[98:99]                 // 0000000068A8: D100002F 018A5FC5
	v_add_u32_e32 v187, 64, v186                               // 0000000068B0: 697774C0
	v_cmp_lt_u32_e64 s[98:99], v187, v195                      // 0000000068B4: D0C90062 000387BB
	s_nop 0                                                    // 0000000068BC: BF800000
	v_cndmask_b32_e64 v48, v197, v48, s[98:99]                 // 0000000068C0: D1000030 018A61C5
	v_add_u32_e32 v187, 0x41, v186                             // 0000000068C8: 697774FF 00000041
	v_cmp_lt_u32_e64 s[98:99], v187, v195                      // 0000000068D0: D0C90062 000387BB
	s_nop 0                                                    // 0000000068D8: BF800000
	v_cndmask_b32_e64 v49, v197, v49, s[98:99]                 // 0000000068DC: D1000031 018A63C5
	v_add_u32_e32 v187, 0x42, v186                             // 0000000068E4: 697774FF 00000042
	v_cmp_lt_u32_e64 s[98:99], v187, v195                      // 0000000068EC: D0C90062 000387BB
	s_nop 0                                                    // 0000000068F4: BF800000
	v_cndmask_b32_e64 v50, v197, v50, s[98:99]                 // 0000000068F8: D1000032 018A65C5
	v_add_u32_e32 v187, 0x43, v186                             // 000000006900: 697774FF 00000043
	v_cmp_lt_u32_e64 s[98:99], v187, v195                      // 000000006908: D0C90062 000387BB
	s_nop 0                                                    // 000000006910: BF800000
	v_cndmask_b32_e64 v51, v197, v51, s[98:99]                 // 000000006914: D1000033 018A67C5
	v_add_u32_e32 v187, 0x80, v186                             // 00000000691C: 697774FF 00000080
	v_cmp_lt_u32_e64 s[98:99], v187, v195                      // 000000006924: D0C90062 000387BB
	s_nop 0                                                    // 00000000692C: BF800000
	v_cndmask_b32_e64 v52, v197, v52, s[98:99]                 // 000000006930: D1000034 018A69C5
	v_add_u32_e32 v187, 0x81, v186                             // 000000006938: 697774FF 00000081
	v_cmp_lt_u32_e64 s[98:99], v187, v195                      // 000000006940: D0C90062 000387BB
	s_nop 0                                                    // 000000006948: BF800000
	v_cndmask_b32_e64 v53, v197, v53, s[98:99]                 // 00000000694C: D1000035 018A6BC5
	v_add_u32_e32 v187, 0x82, v186                             // 000000006954: 697774FF 00000082
	v_cmp_lt_u32_e64 s[98:99], v187, v195                      // 00000000695C: D0C90062 000387BB
	s_nop 0                                                    // 000000006964: BF800000
	v_cndmask_b32_e64 v54, v197, v54, s[98:99]                 // 000000006968: D1000036 018A6DC5
	v_add_u32_e32 v187, 0x83, v186                             // 000000006970: 697774FF 00000083
	v_cmp_lt_u32_e64 s[98:99], v187, v195                      // 000000006978: D0C90062 000387BB
	s_nop 0                                                    // 000000006980: BF800000
	v_cndmask_b32_e64 v55, v197, v55, s[98:99]                 // 000000006984: D1000037 018A6FC5
	v_add_u32_e32 v187, 0xc0, v186                             // 00000000698C: 697774FF 000000C0
	v_cmp_lt_u32_e64 s[98:99], v187, v195                      // 000000006994: D0C90062 000387BB
	s_nop 0                                                    // 00000000699C: BF800000
	v_cndmask_b32_e64 v56, v197, v56, s[98:99]                 // 0000000069A0: D1000038 018A71C5
	v_add_u32_e32 v187, 0xc1, v186                             // 0000000069A8: 697774FF 000000C1
	v_cmp_lt_u32_e64 s[98:99], v187, v195                      // 0000000069B0: D0C90062 000387BB
	s_nop 0                                                    // 0000000069B8: BF800000
	v_cndmask_b32_e64 v57, v197, v57, s[98:99]                 // 0000000069BC: D1000039 018A73C5
	v_add_u32_e32 v187, 0xc2, v186                             // 0000000069C4: 697774FF 000000C2
	v_cmp_lt_u32_e64 s[98:99], v187, v195                      // 0000000069CC: D0C90062 000387BB
	s_nop 0                                                    // 0000000069D4: BF800000
	v_cndmask_b32_e64 v58, v197, v58, s[98:99]                 // 0000000069D8: D100003A 018A75C5
	v_add_u32_e32 v187, 0xc3, v186                             // 0000000069E0: 697774FF 000000C3
	v_cmp_lt_u32_e64 s[98:99], v187, v195                      // 0000000069E8: D0C90062 000387BB
	s_nop 0                                                    // 0000000069F0: BF800000
	v_cndmask_b32_e64 v59, v197, v59, s[98:99]                 // 0000000069F4: D100003B 018A77C5
	v_mov_b32_e32 v150, v28                                    // 0000000069FC: 7F2C031C
	v_max3_f32 v150, v28, v29, v150                            // 000000006A00: D1D30096 065A3B1C
	v_max3_f32 v150, v30, v31, v150                            // 000000006A08: D1D30096 065A3F1E
	v_max3_f32 v150, v32, v33, v150                            // 000000006A10: D1D30096 065A4320
	v_max3_f32 v150, v34, v35, v150                            // 000000006A18: D1D30096 065A4722
	v_max3_f32 v150, v36, v37, v150                            // 000000006A20: D1D30096 065A4B24
	v_max3_f32 v150, v38, v39, v150                            // 000000006A28: D1D30096 065A4F26
	v_max3_f32 v150, v40, v41, v150                            // 000000006A30: D1D30096 065A5328
	v_max3_f32 v150, v42, v43, v150                            // 000000006A38: D1D30096 065A572A
	v_mov_b32_e32 v151, v44                                    // 000000006A40: 7F2E032C
	v_max3_f32 v151, v44, v45, v151                            // 000000006A44: D1D30097 065E5B2C
	v_max3_f32 v151, v46, v47, v151                            // 000000006A4C: D1D30097 065E5F2E
	v_max3_f32 v151, v48, v49, v151                            // 000000006A54: D1D30097 065E6330
	v_max3_f32 v151, v50, v51, v151                            // 000000006A5C: D1D30097 065E6732
	v_max3_f32 v151, v52, v53, v151                            // 000000006A64: D1D30097 065E6B34
	v_max3_f32 v151, v54, v55, v151                            // 000000006A6C: D1D30097 065E6F36
	v_max3_f32 v151, v56, v57, v151                            // 000000006A74: D1D30097 065E7338
	v_max3_f32 v151, v58, v59, v151                            // 000000006A7C: D1D30097 065E773A
	ds_write_b64 v220, v[150:151]                              // 000000006A84: D89A0000 000096DC
	v_pk_mul_f32 v[108:109], v[142:143], v[108:109]            // 000000006A8C: D3B1406C 1802D98E
	v_pk_mul_f32 v[110:111], v[142:143], v[110:111]            // 000000006A94: D3B1406E 1802DD8E
	v_pk_mul_f32 v[112:113], v[142:143], v[112:113]            // 000000006A9C: D3B14070 1802E18E
	v_pk_mul_f32 v[114:115], v[142:143], v[114:115]            // 000000006AA4: D3B14072 1802E58E
	v_pk_mul_f32 v[116:117], v[144:145], v[116:117]            // 000000006AAC: D3B14074 1802E990
	v_pk_mul_f32 v[118:119], v[144:145], v[118:119]            // 000000006AB4: D3B14076 1802ED90
	v_pk_mul_f32 v[120:121], v[144:145], v[120:121]            // 000000006ABC: D3B14078 1802F190
	v_pk_mul_f32 v[122:123], v[144:145], v[122:123]            // 000000006AC4: D3B1407A 1802F590
	s_waitcnt lgkmcnt(0)                                       // 000000006ACC: BF8CC07F
	s_barrier                                                  // 000000006AD0: BF8A0000
	ds_read_b64 v[154:155], v221                               // 000000006AD4: D8EC0000 9A0000DD
	ds_read_b64 v[156:157], v221 offset:128                    // 000000006ADC: D8EC0080 9C0000DD
	ds_read_b64 v[158:159], v221 offset:256                    // 000000006AE4: D8EC0100 9E0000DD
	ds_read_b64 v[160:161], v221 offset:384                    // 000000006AEC: D8EC0180 A00000DD
	ds_read_b64 v[162:163], v221 offset:512                    // 000000006AF4: D8EC0200 A20000DD
	ds_read_b64 v[164:165], v221 offset:640                    // 000000006AFC: D8EC0280 A40000DD
	ds_read_b64 v[166:167], v221 offset:768                    // 000000006B04: D8EC0300 A60000DD
	ds_read_b64 v[168:169], v221 offset:896                    // 000000006B0C: D8EC0380 A80000DD
	ds_read_b64 v[170:171], v221 offset:1024                   // 000000006B14: D8EC0400 AA0000DD
	ds_read_b64 v[172:173], v221 offset:1152                   // 000000006B1C: D8EC0480 AC0000DD
	ds_read_b64 v[174:175], v221 offset:1280                   // 000000006B24: D8EC0500 AE0000DD
	ds_read_b64 v[176:177], v221 offset:1408                   // 000000006B2C: D8EC0580 B00000DD
	ds_read_b64 v[178:179], v221 offset:1536                   // 000000006B34: D8EC0600 B20000DD
	ds_read_b64 v[180:181], v221 offset:1664                   // 000000006B3C: D8EC0680 B40000DD
	ds_read_b64 v[182:183], v221 offset:1792                   // 000000006B44: D8EC0700 B60000DD
	ds_read_b64 v[184:185], v221 offset:1920                   // 000000006B4C: D8EC0780 B80000DD
	v_pk_mul_f32 v[92:93], v[132:133], v[92:93]                // 000000006B54: D3B1405C 1802B984
	v_pk_mul_f32 v[94:95], v[132:133], v[94:95]                // 000000006B5C: D3B1405E 1802BD84
	v_pk_mul_f32 v[96:97], v[132:133], v[96:97]                // 000000006B64: D3B14060 1802C184
	v_pk_mul_f32 v[98:99], v[132:133], v[98:99]                // 000000006B6C: D3B14062 1802C584
	v_pk_mul_f32 v[100:101], v[134:135], v[100:101]            // 000000006B74: D3B14064 1802C986
	v_pk_mul_f32 v[102:103], v[134:135], v[102:103]            // 000000006B7C: D3B14066 1802CD86
	v_pk_mul_f32 v[104:105], v[134:135], v[104:105]            // 000000006B84: D3B14068 1802D186
	v_pk_mul_f32 v[106:107], v[134:135], v[106:107]            // 000000006B8C: D3B1406A 1802D586
	s_waitcnt lgkmcnt(0)                                       // 000000006B94: BF8CC07F
	v_max3_f32 v150, v154, v156, v150                          // 000000006B98: D1D30096 065B399A
	v_max3_f32 v151, v155, v157, v151                          // 000000006BA0: D1D30097 065F3B9B
	v_max3_f32 v150, v158, v160, v150                          // 000000006BA8: D1D30096 065B419E
	v_max3_f32 v151, v159, v161, v151                          // 000000006BB0: D1D30097 065F439F
	v_max3_f32 v150, v162, v164, v150                          // 000000006BB8: D1D30096 065B49A2
	v_max3_f32 v151, v163, v165, v151                          // 000000006BC0: D1D30097 065F4BA3
	v_max3_f32 v150, v166, v168, v150                          // 000000006BC8: D1D30096 065B51A6
	v_max3_f32 v151, v167, v169, v151                          // 000000006BD0: D1D30097 065F53A7
	v_max3_f32 v150, v170, v172, v150                          // 000000006BD8: D1D30096 065B59AA
	v_max3_f32 v151, v171, v173, v151                          // 000000006BE0: D1D30097 065F5BAB
	v_max3_f32 v150, v174, v176, v150                          // 000000006BE8: D1D30096 065B61AE
	v_max3_f32 v151, v175, v177, v151                          // 000000006BF0: D1D30097 065F63AF
	v_max3_f32 v150, v178, v180, v150                          // 000000006BF8: D1D30096 065B69B2
	v_max3_f32 v151, v179, v181, v151                          // 000000006C00: D1D30097 065F6BB3
	v_max3_f32 v150, v182, v184, v150                          // 000000006C08: D1D30096 065B71B6
	v_max3_f32 v151, v183, v185, v151                          // 000000006C10: D1D30097 065F73B7
	v_max_f32_e32 v140, v150, v138                             // 000000006C18: 17191596
	v_mul_f32_e64 v186, -s46, v140                             // 000000006C1C: D10500BA 2003182E
	v_mov_b32_e32 v187, v186                                   // 000000006C24: 7F7603BA
	v_pk_fma_f32 v[28:29], v[28:29], s[46:47], v[186:187]      // 000000006C28: D3B0401C 1EE85D1C
	v_pk_fma_f32 v[30:31], v[30:31], s[46:47], v[186:187]      // 000000006C30: D3B0401E 1EE85D1E
	v_exp_f32_e32 v28, v28                                     // 000000006C38: 7E38411C
	v_exp_f32_e32 v29, v29                                     // 000000006C3C: 7E3A411D
	v_exp_f32_e32 v30, v30                                     // 000000006C40: 7E3C411E
	v_exp_f32_e32 v31, v31                                     // 000000006C44: 7E3E411F
	v_pk_fma_f32 v[32:33], v[32:33], s[46:47], v[186:187]      // 000000006C48: D3B04020 1EE85D20
	v_pk_fma_f32 v[34:35], v[34:35], s[46:47], v[186:187]      // 000000006C50: D3B04022 1EE85D22
	v_exp_f32_e32 v32, v32                                     // 000000006C58: 7E404120
	v_exp_f32_e32 v33, v33                                     // 000000006C5C: 7E424121
	v_exp_f32_e32 v34, v34                                     // 000000006C60: 7E444122
	v_exp_f32_e32 v35, v35                                     // 000000006C64: 7E464123
	v_pk_fma_f32 v[36:37], v[36:37], s[46:47], v[186:187]      // 000000006C68: D3B04024 1EE85D24
	v_pk_fma_f32 v[38:39], v[38:39], s[46:47], v[186:187]      // 000000006C70: D3B04026 1EE85D26
	v_exp_f32_e32 v36, v36                                     // 000000006C78: 7E484124
	v_exp_f32_e32 v37, v37                                     // 000000006C7C: 7E4A4125
	v_exp_f32_e32 v38, v38                                     // 000000006C80: 7E4C4126
	v_exp_f32_e32 v39, v39                                     // 000000006C84: 7E4E4127
	v_pk_fma_f32 v[40:41], v[40:41], s[46:47], v[186:187]      // 000000006C88: D3B04028 1EE85D28
	v_pk_fma_f32 v[42:43], v[42:43], s[46:47], v[186:187]      // 000000006C90: D3B0402A 1EE85D2A
	v_exp_f32_e32 v40, v40                                     // 000000006C98: 7E504128
	v_exp_f32_e32 v41, v41                                     // 000000006C9C: 7E524129
	v_exp_f32_e32 v42, v42                                     // 000000006CA0: 7E54412A
	v_exp_f32_e32 v43, v43                                     // 000000006CA4: 7E56412B
	v_max_f32_e32 v141, v151, v139                             // 000000006CA8: 171B1797
	v_mul_f32_e64 v186, -s46, v141                             // 000000006CAC: D10500BA 20031A2E
	v_mov_b32_e32 v187, v186                                   // 000000006CB4: 7F7603BA
	v_pk_fma_f32 v[44:45], v[44:45], s[46:47], v[186:187]      // 000000006CB8: D3B0402C 1EE85D2C
	v_pk_fma_f32 v[46:47], v[46:47], s[46:47], v[186:187]      // 000000006CC0: D3B0402E 1EE85D2E
	v_exp_f32_e32 v44, v44                                     // 000000006CC8: 7E58412C
	v_exp_f32_e32 v45, v45                                     // 000000006CCC: 7E5A412D
	v_exp_f32_e32 v46, v46                                     // 000000006CD0: 7E5C412E
	v_exp_f32_e32 v47, v47                                     // 000000006CD4: 7E5E412F
	v_pk_fma_f32 v[48:49], v[48:49], s[46:47], v[186:187]      // 000000006CD8: D3B04030 1EE85D30
	v_pk_fma_f32 v[50:51], v[50:51], s[46:47], v[186:187]      // 000000006CE0: D3B04032 1EE85D32
	v_exp_f32_e32 v48, v48                                     // 000000006CE8: 7E604130
	v_exp_f32_e32 v49, v49                                     // 000000006CEC: 7E624131
	v_exp_f32_e32 v50, v50                                     // 000000006CF0: 7E644132
	v_exp_f32_e32 v51, v51                                     // 000000006CF4: 7E664133
	v_pk_fma_f32 v[52:53], v[52:53], s[46:47], v[186:187]      // 000000006CF8: D3B04034 1EE85D34
	v_pk_fma_f32 v[54:55], v[54:55], s[46:47], v[186:187]      // 000000006D00: D3B04036 1EE85D36
	v_exp_f32_e32 v52, v52                                     // 000000006D08: 7E684134
	v_exp_f32_e32 v53, v53                                     // 000000006D0C: 7E6A4135
	v_exp_f32_e32 v54, v54                                     // 000000006D10: 7E6C4136
	v_exp_f32_e32 v55, v55                                     // 000000006D14: 7E6E4137
	v_pk_fma_f32 v[56:57], v[56:57], s[46:47], v[186:187]      // 000000006D18: D3B04038 1EE85D38
	v_pk_fma_f32 v[58:59], v[58:59], s[46:47], v[186:187]      // 000000006D20: D3B0403A 1EE85D3A
	v_exp_f32_e32 v56, v56                                     // 000000006D28: 7E704138
	v_exp_f32_e32 v57, v57                                     // 000000006D2C: 7E724139
	v_exp_f32_e32 v58, v58                                     // 000000006D30: 7E74413A
	v_exp_f32_e32 v59, v59                                     // 000000006D34: 7E76413B
	v_mul_f32_dpp v60, v130, v28 row_newbcast:0 row_mask:0xf bank_mask:0xf// 000000006D38: 0A7838FA FF015082
	v_mul_f32_dpp v61, v130, v29 row_newbcast:1 row_mask:0xf bank_mask:0xf// 000000006D40: 0A7A3AFA FF015182
	v_mul_f32_dpp v62, v130, v30 row_newbcast:2 row_mask:0xf bank_mask:0xf// 000000006D48: 0A7C3CFA FF015282
	v_mul_f32_dpp v63, v130, v31 row_newbcast:3 row_mask:0xf bank_mask:0xf// 000000006D50: 0A7E3EFA FF015382
	v_mul_f32_dpp v64, v130, v32 row_newbcast:4 row_mask:0xf bank_mask:0xf// 000000006D58: 0A8040FA FF015482
	v_mul_f32_dpp v65, v130, v33 row_newbcast:5 row_mask:0xf bank_mask:0xf// 000000006D60: 0A8242FA FF015582
	v_mul_f32_dpp v66, v130, v34 row_newbcast:6 row_mask:0xf bank_mask:0xf// 000000006D68: 0A8444FA FF015682
	v_mul_f32_dpp v67, v130, v35 row_newbcast:7 row_mask:0xf bank_mask:0xf// 000000006D70: 0A8646FA FF015782
	v_mul_f32_dpp v68, v130, v36 row_newbcast:8 row_mask:0xf bank_mask:0xf// 000000006D78: 0A8848FA FF015882
	v_mul_f32_dpp v69, v130, v37 row_newbcast:9 row_mask:0xf bank_mask:0xf// 000000006D80: 0A8A4AFA FF015982
	v_mul_f32_dpp v70, v130, v38 row_newbcast:10 row_mask:0xf bank_mask:0xf// 000000006D88: 0A8C4CFA FF015A82
	v_mul_f32_dpp v71, v130, v39 row_newbcast:11 row_mask:0xf bank_mask:0xf// 000000006D90: 0A8E4EFA FF015B82
	v_mul_f32_dpp v72, v130, v40 row_newbcast:12 row_mask:0xf bank_mask:0xf// 000000006D98: 0A9050FA FF015C82
	v_mul_f32_dpp v73, v130, v41 row_newbcast:13 row_mask:0xf bank_mask:0xf// 000000006DA0: 0A9252FA FF015D82
	v_mul_f32_dpp v74, v130, v42 row_newbcast:14 row_mask:0xf bank_mask:0xf// 000000006DA8: 0A9454FA FF015E82
	v_mul_f32_dpp v75, v130, v43 row_newbcast:15 row_mask:0xf bank_mask:0xf// 000000006DB0: 0A9656FA FF015F82
	v_mul_f32_dpp v76, v130, v44 row_newbcast:0 row_mask:0xf bank_mask:0xf// 000000006DB8: 0A9858FA FF015082
	v_mul_f32_dpp v77, v130, v45 row_newbcast:1 row_mask:0xf bank_mask:0xf// 000000006DC0: 0A9A5AFA FF015182
	v_mul_f32_dpp v78, v130, v46 row_newbcast:2 row_mask:0xf bank_mask:0xf// 000000006DC8: 0A9C5CFA FF015282
	v_mul_f32_dpp v79, v130, v47 row_newbcast:3 row_mask:0xf bank_mask:0xf// 000000006DD0: 0A9E5EFA FF015382
	v_mul_f32_dpp v80, v130, v48 row_newbcast:4 row_mask:0xf bank_mask:0xf// 000000006DD8: 0AA060FA FF015482
	v_mul_f32_dpp v81, v130, v49 row_newbcast:5 row_mask:0xf bank_mask:0xf// 000000006DE0: 0AA262FA FF015582
	v_mul_f32_dpp v82, v130, v50 row_newbcast:6 row_mask:0xf bank_mask:0xf// 000000006DE8: 0AA464FA FF015682
	v_mul_f32_dpp v83, v130, v51 row_newbcast:7 row_mask:0xf bank_mask:0xf// 000000006DF0: 0AA666FA FF015782
	v_mul_f32_dpp v84, v130, v52 row_newbcast:8 row_mask:0xf bank_mask:0xf// 000000006DF8: 0AA868FA FF015882
	v_mul_f32_dpp v85, v130, v53 row_newbcast:9 row_mask:0xf bank_mask:0xf// 000000006E00: 0AAA6AFA FF015982
	v_mul_f32_dpp v86, v130, v54 row_newbcast:10 row_mask:0xf bank_mask:0xf// 000000006E08: 0AAC6CFA FF015A82
	v_mul_f32_dpp v87, v130, v55 row_newbcast:11 row_mask:0xf bank_mask:0xf// 000000006E10: 0AAE6EFA FF015B82
	v_mul_f32_dpp v88, v130, v56 row_newbcast:12 row_mask:0xf bank_mask:0xf// 000000006E18: 0AB070FA FF015C82
	v_mul_f32_dpp v89, v130, v57 row_newbcast:13 row_mask:0xf bank_mask:0xf// 000000006E20: 0AB272FA FF015D82
	v_mul_f32_dpp v90, v130, v58 row_newbcast:14 row_mask:0xf bank_mask:0xf// 000000006E28: 0AB474FA FF015E82
	v_mul_f32_dpp v91, v130, v59 row_newbcast:15 row_mask:0xf bank_mask:0xf// 000000006E30: 0AB676FA FF015F82
	v_add_u32_e32 v186, s64, v196                              // 000000006E38: 69758840
	v_add_u32_e32 v187, 0, v186                                // 000000006E3C: 69777480
	v_cmp_lt_u32_e32 vcc, v187, v194                           // 000000006E40: 7D9385BB
	v_cndmask_b32_e32 v60, 0, v60, vcc                         // 000000006E44: 00787880
	v_cmp_lt_u32_e32 vcc, v187, v195                           // 000000006E48: 7D9387BB
	v_cndmask_b32_e32 v76, 0, v76, vcc                         // 000000006E4C: 00989880
	v_add_u32_e32 v187, 1, v186                                // 000000006E50: 69777481
	v_cmp_lt_u32_e32 vcc, v187, v194                           // 000000006E54: 7D9385BB
	v_cndmask_b32_e32 v61, 0, v61, vcc                         // 000000006E58: 007A7A80
	v_cmp_lt_u32_e32 vcc, v187, v195                           // 000000006E5C: 7D9387BB
	v_cndmask_b32_e32 v77, 0, v77, vcc                         // 000000006E60: 009A9A80
	v_add_u32_e32 v187, 2, v186                                // 000000006E64: 69777482
	v_cmp_lt_u32_e32 vcc, v187, v194                           // 000000006E68: 7D9385BB
	v_cndmask_b32_e32 v62, 0, v62, vcc                         // 000000006E6C: 007C7C80
	v_cmp_lt_u32_e32 vcc, v187, v195                           // 000000006E70: 7D9387BB
	v_cndmask_b32_e32 v78, 0, v78, vcc                         // 000000006E74: 009C9C80
	v_add_u32_e32 v187, 3, v186                                // 000000006E78: 69777483
	v_cmp_lt_u32_e32 vcc, v187, v194                           // 000000006E7C: 7D9385BB
	v_cndmask_b32_e32 v63, 0, v63, vcc                         // 000000006E80: 007E7E80
	v_cmp_lt_u32_e32 vcc, v187, v195                           // 000000006E84: 7D9387BB
	v_cndmask_b32_e32 v79, 0, v79, vcc                         // 000000006E88: 009E9E80
	v_add_u32_e32 v187, 64, v186                               // 000000006E8C: 697774C0
	v_cmp_lt_u32_e32 vcc, v187, v194                           // 000000006E90: 7D9385BB
	v_cndmask_b32_e32 v64, 0, v64, vcc                         // 000000006E94: 00808080
	v_cmp_lt_u32_e32 vcc, v187, v195                           // 000000006E98: 7D9387BB
	v_cndmask_b32_e32 v80, 0, v80, vcc                         // 000000006E9C: 00A0A080
	v_add_u32_e32 v187, 0x41, v186                             // 000000006EA0: 697774FF 00000041
	v_cmp_lt_u32_e32 vcc, v187, v194                           // 000000006EA8: 7D9385BB
	v_cndmask_b32_e32 v65, 0, v65, vcc                         // 000000006EAC: 00828280
	v_cmp_lt_u32_e32 vcc, v187, v195                           // 000000006EB0: 7D9387BB
	v_cndmask_b32_e32 v81, 0, v81, vcc                         // 000000006EB4: 00A2A280
	v_add_u32_e32 v187, 0x42, v186                             // 000000006EB8: 697774FF 00000042
	v_cmp_lt_u32_e32 vcc, v187, v194                           // 000000006EC0: 7D9385BB
	v_cndmask_b32_e32 v66, 0, v66, vcc                         // 000000006EC4: 00848480
	v_cmp_lt_u32_e32 vcc, v187, v195                           // 000000006EC8: 7D9387BB
	v_cndmask_b32_e32 v82, 0, v82, vcc                         // 000000006ECC: 00A4A480
	v_add_u32_e32 v187, 0x43, v186                             // 000000006ED0: 697774FF 00000043
	v_cmp_lt_u32_e32 vcc, v187, v194                           // 000000006ED8: 7D9385BB
	v_cndmask_b32_e32 v67, 0, v67, vcc                         // 000000006EDC: 00868680
	v_cmp_lt_u32_e32 vcc, v187, v195                           // 000000006EE0: 7D9387BB
	v_cndmask_b32_e32 v83, 0, v83, vcc                         // 000000006EE4: 00A6A680
	v_add_u32_e32 v187, 0x80, v186                             // 000000006EE8: 697774FF 00000080
	v_cmp_lt_u32_e32 vcc, v187, v194                           // 000000006EF0: 7D9385BB
	v_cndmask_b32_e32 v68, 0, v68, vcc                         // 000000006EF4: 00888880
	v_cmp_lt_u32_e32 vcc, v187, v195                           // 000000006EF8: 7D9387BB
	v_cndmask_b32_e32 v84, 0, v84, vcc                         // 000000006EFC: 00A8A880
	v_add_u32_e32 v187, 0x81, v186                             // 000000006F00: 697774FF 00000081
	v_cmp_lt_u32_e32 vcc, v187, v194                           // 000000006F08: 7D9385BB
	v_cndmask_b32_e32 v69, 0, v69, vcc                         // 000000006F0C: 008A8A80
	v_cmp_lt_u32_e32 vcc, v187, v195                           // 000000006F10: 7D9387BB
	v_cndmask_b32_e32 v85, 0, v85, vcc                         // 000000006F14: 00AAAA80
	v_add_u32_e32 v187, 0x82, v186                             // 000000006F18: 697774FF 00000082
	v_cmp_lt_u32_e32 vcc, v187, v194                           // 000000006F20: 7D9385BB
	v_cndmask_b32_e32 v70, 0, v70, vcc                         // 000000006F24: 008C8C80
	v_cmp_lt_u32_e32 vcc, v187, v195                           // 000000006F28: 7D9387BB
	v_cndmask_b32_e32 v86, 0, v86, vcc                         // 000000006F2C: 00ACAC80
	v_add_u32_e32 v187, 0x83, v186                             // 000000006F30: 697774FF 00000083
	v_cmp_lt_u32_e32 vcc, v187, v194                           // 000000006F38: 7D9385BB
	v_cndmask_b32_e32 v71, 0, v71, vcc                         // 000000006F3C: 008E8E80
	v_cmp_lt_u32_e32 vcc, v187, v195                           // 000000006F40: 7D9387BB
	v_cndmask_b32_e32 v87, 0, v87, vcc                         // 000000006F44: 00AEAE80
	v_add_u32_e32 v187, 0xc0, v186                             // 000000006F48: 697774FF 000000C0
	v_cmp_lt_u32_e32 vcc, v187, v194                           // 000000006F50: 7D9385BB
	v_cndmask_b32_e32 v72, 0, v72, vcc                         // 000000006F54: 00909080
	v_cmp_lt_u32_e32 vcc, v187, v195                           // 000000006F58: 7D9387BB
	v_cndmask_b32_e32 v88, 0, v88, vcc                         // 000000006F5C: 00B0B080
	v_add_u32_e32 v187, 0xc1, v186                             // 000000006F60: 697774FF 000000C1
	v_cmp_lt_u32_e32 vcc, v187, v194                           // 000000006F68: 7D9385BB
	v_cndmask_b32_e32 v73, 0, v73, vcc                         // 000000006F6C: 00929280
	v_cmp_lt_u32_e32 vcc, v187, v195                           // 000000006F70: 7D9387BB
	v_cndmask_b32_e32 v89, 0, v89, vcc                         // 000000006F74: 00B2B280
	v_add_u32_e32 v187, 0xc2, v186                             // 000000006F78: 697774FF 000000C2
	v_cmp_lt_u32_e32 vcc, v187, v194                           // 000000006F80: 7D9385BB
	v_cndmask_b32_e32 v74, 0, v74, vcc                         // 000000006F84: 00949480
	v_cmp_lt_u32_e32 vcc, v187, v195                           // 000000006F88: 7D9387BB
	v_cndmask_b32_e32 v90, 0, v90, vcc                         // 000000006F8C: 00B4B480
	v_add_u32_e32 v187, 0xc3, v186                             // 000000006F90: 697774FF 000000C3
	v_cmp_lt_u32_e32 vcc, v187, v194                           // 000000006F98: 7D9385BB
	v_cndmask_b32_e32 v75, 0, v75, vcc                         // 000000006F9C: 00969680
	v_cmp_lt_u32_e32 vcc, v187, v195                           // 000000006FA0: 7D9387BB
	v_cndmask_b32_e32 v91, 0, v91, vcc                         // 000000006FA4: 00B6B680
	buffer_load_dword v129, v208, s[20:23], 0 offen            // 000000006FA8: E0501000 800581D0
	v_sub_f32_e32 v142, v138, v140                             // 000000006FB0: 051D198A
	v_cmp_eq_u32_e64 s[98:99], v197, v138                      // 000000006FB4: D0CA0062 000315C5
	v_cndmask_b32_e64 v142, v142, 0, s[98:99]                  // 000000006FBC: D100008E 0189018E
	v_mov_b32_e32 v138, v140                                   // 000000006FC4: 7F14038C
	v_mul_f32_e32 v142, s46, v142                              // 000000006FC8: 0B1D1C2E
	v_exp_f32_e32 v142, v142                                   // 000000006FCC: 7F1C418E
	v_sub_f32_e32 v144, v139, v141                             // 000000006FD0: 05211B8B
	v_cmp_eq_u32_e64 s[98:99], v197, v139                      // 000000006FD4: D0CA0062 000317C5
	v_cndmask_b32_e64 v144, v144, 0, s[98:99]                  // 000000006FDC: D1000090 01890190
	v_mov_b32_e32 v139, v141                                   // 000000006FE4: 7F16038D
	v_mul_f32_e32 v144, s46, v144                              // 000000006FE8: 0B21202E
	v_exp_f32_e32 v144, v144                                   // 000000006FEC: 7F204190
	v_mov_b32_e32 v143, v142                                   // 000000006FF0: 7F1E038E
	v_mov_b32_e32 v145, v144                                   // 000000006FF4: 7F220390
	buffer_load_dword v131, v209, s[24:27], 0 offen            // 000000006FF8: E0501000 800683D1
	s_waitcnt lgkmcnt(0)                                       // 000000007000: BF8CC07F
	s_barrier                                                  // 000000007004: BF8A0000
	v_mul_f32_e32 v146, v142, v146                             // 000000007008: 0B25258E
	v_mov_b32_e32 v147, 0                                      // 00000000700C: 7F260280
	v_pk_add_f32 v[146:147], v[28:29], v[146:147]              // 000000007010: D3B24092 1803251C
	v_pk_add_f32 v[146:147], v[30:31], v[146:147]              // 000000007018: D3B24092 1803251E
	v_pk_add_f32 v[146:147], v[32:33], v[146:147]              // 000000007020: D3B24092 18032520
	v_pk_add_f32 v[146:147], v[34:35], v[146:147]              // 000000007028: D3B24092 18032522
	;; [unrolled: 1-line block ×5, first 2 shown]
	v_pk_add_f32 v[146:147], v[42:43], v[146:147]              // 000000007048: D3B24092 1803252A
	v_add_f32_e32 v146, v147, v146                             // 000000007050: 03252593
	v_mul_f32_e32 v148, v144, v148                             // 000000007054: 0B292990
	v_mov_b32_e32 v149, 0                                      // 000000007058: 7F2A0280
	v_pk_add_f32 v[148:149], v[44:45], v[148:149]              // 00000000705C: D3B24094 1803292C
	v_pk_add_f32 v[148:149], v[46:47], v[148:149]              // 000000007064: D3B24094 1803292E
	v_pk_add_f32 v[148:149], v[48:49], v[148:149]              // 00000000706C: D3B24094 18032930
	v_pk_add_f32 v[148:149], v[50:51], v[148:149]              // 000000007074: D3B24094 18032932
	v_pk_add_f32 v[148:149], v[52:53], v[148:149]              // 00000000707C: D3B24094 18032934
	v_pk_add_f32 v[148:149], v[54:55], v[148:149]              // 000000007084: D3B24094 18032936
	v_pk_add_f32 v[148:149], v[56:57], v[148:149]              // 00000000708C: D3B24094 18032938
	v_pk_add_f32 v[148:149], v[58:59], v[148:149]              // 000000007094: D3B24094 1803293A
	v_add_f32_e32 v148, v149, v148                             // 00000000709C: 03292995
	s_waitcnt lgkmcnt(0)                                       // 0000000070A0: BF8CC07F
	v_sub_f32_e32 v150, v150, v138                             // 0000000070A4: 052D1596
	v_sub_f32_e32 v151, v151, v139                             // 0000000070A8: 052F1797
	v_mul_f32_e32 v150, s46, v150                              // 0000000070AC: 0B2D2C2E
	v_mul_f32_e32 v151, s46, v151                              // 0000000070B0: 0B2F2E2E
	v_exp_f32_e32 v150, v150                                   // 0000000070B4: 7F2C4196
	v_exp_f32_e32 v151, v151                                   // 0000000070B8: 7F2E4197
	v_mul_f32_e32 v150, v130, v150                             // 0000000070BC: 0B2D2D82
	v_mul_f32_e32 v151, v130, v151                             // 0000000070C0: 0B2F2F82
	v_add_f32_e32 v150, 0x3089705f, v150                       // 0000000070C4: 032D2CFF 3089705F
	v_add_f32_e32 v151, 0x3089705f, v151                       // 0000000070CC: 032F2EFF 3089705F
	v_rcp_f32_e32 v150, v150                                   // 0000000070D4: 7F2C4596
	v_rcp_f32_e32 v151, v151                                   // 0000000070D8: 7F2E4597
	v_mul_f32_e32 v150, 0x43700000, v150                       // 0000000070DC: 0B2D2CFF 43700000
	v_mul_f32_e32 v151, 0x43700000, v151                       // 0000000070E4: 0B2F2EFF 43700000
	v_mov_b32_e32 v152, v151                                   // 0000000070EC: 7F300397
	v_mov_b32_e32 v153, v151                                   // 0000000070F0: 7F320397
	v_mov_b32_e32 v151, v150                                   // 0000000070F4: 7F2E0396
	v_pk_mul_f32 v[28:29], v[150:151], v[60:61]                // 0000000070F8: D3B1401C 18027996
	v_pk_mul_f32 v[30:31], v[150:151], v[62:63]                // 000000007100: D3B1401E 18027D96
	v_pk_mul_f32 v[32:33], v[150:151], v[64:65]                // 000000007108: D3B14020 18028196
	v_pk_mul_f32 v[34:35], v[150:151], v[66:67]                // 000000007110: D3B14022 18028596
	v_pk_mul_f32 v[36:37], v[150:151], v[68:69]                // 000000007118: D3B14024 18028996
	v_pk_mul_f32 v[38:39], v[150:151], v[70:71]                // 000000007120: D3B14026 18028D96
	v_pk_mul_f32 v[40:41], v[150:151], v[72:73]                // 000000007128: D3B14028 18029196
	v_pk_mul_f32 v[42:43], v[150:151], v[74:75]                // 000000007130: D3B1402A 18029596
	v_pk_mul_f32 v[44:45], v[152:153], v[76:77]                // 000000007138: D3B1402C 18029998
	v_pk_mul_f32 v[46:47], v[152:153], v[78:79]                // 000000007140: D3B1402E 18029D98
	v_pk_mul_f32 v[48:49], v[152:153], v[80:81]                // 000000007148: D3B14030 1802A198
	v_pk_mul_f32 v[50:51], v[152:153], v[82:83]                // 000000007150: D3B14032 1802A598
	v_pk_mul_f32 v[52:53], v[152:153], v[84:85]                // 000000007158: D3B14034 1802A998
	v_pk_mul_f32 v[54:55], v[152:153], v[86:87]                // 000000007160: D3B14036 1802AD98
	v_pk_mul_f32 v[56:57], v[152:153], v[88:89]                // 000000007168: D3B14038 1802B198
	v_pk_mul_f32 v[58:59], v[152:153], v[90:91]                // 000000007170: D3B1403A 1802B598
	v_cvt_pk_fp8_f32 v28, v28, v29                             // 000000007178: D2A2001C 00023B1C
	v_cvt_pk_fp8_f32 v28, v30, v31 op_sel:[0,0,1]              // 000000007180: D2A2401C 00023F1E
	v_cvt_pk_fp8_f32 v29, v32, v33                             // 000000007188: D2A2001D 00024320
	v_cvt_pk_fp8_f32 v29, v34, v35 op_sel:[0,0,1]              // 000000007190: D2A2401D 00024722
	v_cvt_pk_fp8_f32 v30, v36, v37                             // 000000007198: D2A2001E 00024B24
	v_cvt_pk_fp8_f32 v30, v38, v39 op_sel:[0,0,1]              // 0000000071A0: D2A2401E 00024F26
	v_cvt_pk_fp8_f32 v31, v40, v41                             // 0000000071A8: D2A2001F 00025328
	v_cvt_pk_fp8_f32 v31, v42, v43 op_sel:[0,0,1]              // 0000000071B0: D2A2401F 0002572A
	v_cvt_pk_fp8_f32 v32, v44, v45                             // 0000000071B8: D2A20020 00025B2C
	v_cvt_pk_fp8_f32 v32, v46, v47 op_sel:[0,0,1]              // 0000000071C0: D2A24020 00025F2E
	v_cvt_pk_fp8_f32 v33, v48, v49                             // 0000000071C8: D2A20021 00026330
	v_cvt_pk_fp8_f32 v33, v50, v51 op_sel:[0,0,1]              // 0000000071D0: D2A24021 00026732
	v_cvt_pk_fp8_f32 v34, v52, v53                             // 0000000071D8: D2A20022 00026B34
	v_cvt_pk_fp8_f32 v34, v54, v55 op_sel:[0,0,1]              // 0000000071E0: D2A24022 00026F36
	v_cvt_pk_fp8_f32 v35, v56, v57                             // 0000000071E8: D2A20023 00027338
	v_cvt_pk_fp8_f32 v35, v58, v59 op_sel:[0,0,1]              // 0000000071F0: D2A24023 0002773A
	ds_write_b32 v222, v28 offset:4608                         // 0000000071F8: D81A1200 00001CDE
	ds_write_b32 v222, v29 offset:5632                         // 000000007200: D81A1600 00001DDE
	ds_write_b32 v222, v30 offset:6656                         // 000000007208: D81A1A00 00001EDE
	ds_write_b32 v222, v31 offset:7680                         // 000000007210: D81A1E00 00001FDE
	ds_write_b32 v222, v32 offset:8704                         // 000000007218: D81A2200 000020DE
	ds_write_b32 v222, v33 offset:9728                         // 000000007220: D81A2600 000021DE
	ds_write_b32 v222, v34 offset:10752                        // 000000007228: D81A2A00 000022DE
	ds_write_b32 v222, v35 offset:11776                        // 000000007230: D81A2E00 000023DE
	v_rcp_f32_e32 v132, v150                                   // 000000007238: 7F084596
	v_rcp_f32_e32 v134, v152                                   // 00000000723C: 7F0C4598
	v_mov_b32_e32 v133, v132                                   // 000000007240: 7F0A0384
	v_mov_b32_e32 v135, v134                                   // 000000007244: 7F0E0386
	v_pk_add_f32 v[108:109], v[108:109], v[92:93]              // 000000007248: D3B2406C 1802B96C
	v_pk_add_f32 v[110:111], v[110:111], v[94:95]              // 000000007250: D3B2406E 1802BD6E
	v_pk_add_f32 v[112:113], v[112:113], v[96:97]              // 000000007258: D3B24070 1802C170
	v_pk_add_f32 v[114:115], v[114:115], v[98:99]              // 000000007260: D3B24072 1802C572
	v_pk_add_f32 v[116:117], v[116:117], v[100:101]            // 000000007268: D3B24074 1802C974
	v_pk_add_f32 v[118:119], v[118:119], v[102:103]            // 000000007270: D3B24076 1802CD76
	v_pk_add_f32 v[120:121], v[120:121], v[104:105]            // 000000007278: D3B24078 1802D178
	v_pk_add_f32 v[122:123], v[122:123], v[106:107]            // 000000007280: D3B2407A 1802D57A
	s_waitcnt lgkmcnt(0)                                       // 000000007288: BF8CC07F
	s_barrier                                                  // 00000000728C: BF8A0000
	ds_read_b128 v[28:31], v223 offset:4608                    // 000000007290: D9FE1200 1C0000DF
	ds_read_b128 v[32:35], v223 offset:5632                    // 000000007298: D9FE1600 200000DF
	ds_read_b128 v[36:39], v223 offset:6656                    // 0000000072A0: D9FE1A00 240000DF
	ds_read_b128 v[40:43], v223 offset:7680                    // 0000000072A8: D9FE1E00 280000DF
	ds_read_b128 v[44:47], v223 offset:8704                    // 0000000072B0: D9FE2200 2C0000DF
	ds_read_b128 v[48:51], v223 offset:9728                    // 0000000072B8: D9FE2600 300000DF
	ds_read_b128 v[52:55], v223 offset:10752                   // 0000000072C0: D9FE2A00 340000DF
	ds_read_b128 v[56:59], v223 offset:11776                   // 0000000072C8: D9FE2E00 380000DF
	s_waitcnt vmcnt(10)                                        // 0000000072D0: BF8C0F7A
	v_lshrrev_b32_e32 v136, 4, v0                              // 0000000072D4: 21100084
	v_lshlrev_b32_e32 v136, 4, v136                            // 0000000072D8: 25111084
	v_add_u32_e32 v186, s64, v136                              // 0000000072DC: 69751040
	v_add_u32_e32 v186, 4, v186                                // 0000000072E0: 69757484
	v_sub_i32 v186, v186, s62                                  // 0000000072E4: D29D00BA 00007DBA
	s_mov_b32 s54, 0                                           // 0000000072EC: BEB60080
	v_add_i32 v187, s54, v186                                  // 0000000072F0: D29C00BB 00037436
	v_cmp_lt_i32_e64 vcc, v187, 4                              // 0000000072F8: D0C1006A 000109BB
	v_min_u32_e32 v187, 4, v187                                // 000000007300: 1D777684
	v_lshlrev_b32_e32 v187, 3, v187                            // 000000007304: 25777683
	v_lshrrev_b32_e64 v188, v187, -1                           // 000000007308: D11000BC 000183BB
	v_accvgpr_read_b32 v189, a64                               // 000000007310: D3D840BD 18000140
	v_cndmask_b32_e32 v189, 0, v189, vcc                       // 000000007318: 017B7A80
	v_and_b32_e32 v189, v189, v188                             // 00000000731C: 277B79BD
	v_accvgpr_write_b32 a64, v189                              // 000000007320: D3D94040 180001BD
	v_accvgpr_read_b32 v189, a80                               // 000000007328: D3D840BD 18000150
	v_cndmask_b32_e32 v189, 0, v189, vcc                       // 000000007330: 017B7A80
	v_and_b32_e32 v189, v189, v188                             // 000000007334: 277B79BD
	v_accvgpr_write_b32 a80, v189                              // 000000007338: D3D94050 180001BD
	s_mov_b32 s54, 4                                           // 000000007340: BEB60084
	v_add_i32 v187, s54, v186                                  // 000000007344: D29C00BB 00037436
	v_cmp_lt_i32_e64 vcc, v187, 4                              // 00000000734C: D0C1006A 000109BB
	v_min_u32_e32 v187, 4, v187                                // 000000007354: 1D777684
	v_lshlrev_b32_e32 v187, 3, v187                            // 000000007358: 25777683
	v_lshrrev_b32_e64 v188, v187, -1                           // 00000000735C: D11000BC 000183BB
	v_accvgpr_read_b32 v189, a65                               // 000000007364: D3D840BD 18000141
	v_cndmask_b32_e32 v189, 0, v189, vcc                       // 00000000736C: 017B7A80
	v_and_b32_e32 v189, v189, v188                             // 000000007370: 277B79BD
	v_accvgpr_write_b32 a65, v189                              // 000000007374: D3D94041 180001BD
	v_accvgpr_read_b32 v189, a81                               // 00000000737C: D3D840BD 18000151
	v_cndmask_b32_e32 v189, 0, v189, vcc                       // 000000007384: 017B7A80
	v_and_b32_e32 v189, v189, v188                             // 000000007388: 277B79BD
	v_accvgpr_write_b32 a81, v189                              // 00000000738C: D3D94051 180001BD
	s_mov_b32 s54, 8                                           // 000000007394: BEB60088
	v_add_i32 v187, s54, v186                                  // 000000007398: D29C00BB 00037436
	v_cmp_lt_i32_e64 vcc, v187, 4                              // 0000000073A0: D0C1006A 000109BB
	v_min_u32_e32 v187, 4, v187                                // 0000000073A8: 1D777684
	v_lshlrev_b32_e32 v187, 3, v187                            // 0000000073AC: 25777683
	v_lshrrev_b32_e64 v188, v187, -1                           // 0000000073B0: D11000BC 000183BB
	v_accvgpr_read_b32 v189, a66                               // 0000000073B8: D3D840BD 18000142
	v_cndmask_b32_e32 v189, 0, v189, vcc                       // 0000000073C0: 017B7A80
	v_and_b32_e32 v189, v189, v188                             // 0000000073C4: 277B79BD
	v_accvgpr_write_b32 a66, v189                              // 0000000073C8: D3D94042 180001BD
	v_accvgpr_read_b32 v189, a82                               // 0000000073D0: D3D840BD 18000152
	v_cndmask_b32_e32 v189, 0, v189, vcc                       // 0000000073D8: 017B7A80
	v_and_b32_e32 v189, v189, v188                             // 0000000073DC: 277B79BD
	v_accvgpr_write_b32 a82, v189                              // 0000000073E0: D3D94052 180001BD
	s_mov_b32 s54, 12                                          // 0000000073E8: BEB6008C
	v_add_i32 v187, s54, v186                                  // 0000000073EC: D29C00BB 00037436
	v_cmp_lt_i32_e64 vcc, v187, 4                              // 0000000073F4: D0C1006A 000109BB
	v_min_u32_e32 v187, 4, v187                                // 0000000073FC: 1D777684
	v_lshlrev_b32_e32 v187, 3, v187                            // 000000007400: 25777683
	v_lshrrev_b32_e64 v188, v187, -1                           // 000000007404: D11000BC 000183BB
	v_accvgpr_read_b32 v189, a67                               // 00000000740C: D3D840BD 18000143
	v_cndmask_b32_e32 v189, 0, v189, vcc                       // 000000007414: 017B7A80
	v_and_b32_e32 v189, v189, v188                             // 000000007418: 277B79BD
	v_accvgpr_write_b32 a67, v189                              // 00000000741C: D3D94043 180001BD
	v_accvgpr_read_b32 v189, a83                               // 000000007424: D3D840BD 18000153
	v_cndmask_b32_e32 v189, 0, v189, vcc                       // 00000000742C: 017B7A80
	v_and_b32_e32 v189, v189, v188                             // 000000007430: 277B79BD
	v_accvgpr_write_b32 a83, v189                              // 000000007434: D3D94053 180001BD
	s_mov_b32 s54, 64                                          // 00000000743C: BEB600C0
	v_add_i32 v187, s54, v186                                  // 000000007440: D29C00BB 00037436
	v_cmp_lt_i32_e64 vcc, v187, 4                              // 000000007448: D0C1006A 000109BB
	v_min_u32_e32 v187, 4, v187                                // 000000007450: 1D777684
	v_lshlrev_b32_e32 v187, 3, v187                            // 000000007454: 25777683
	v_lshrrev_b32_e64 v188, v187, -1                           // 000000007458: D11000BC 000183BB
	v_accvgpr_read_b32 v189, a68                               // 000000007460: D3D840BD 18000144
	v_cndmask_b32_e32 v189, 0, v189, vcc                       // 000000007468: 017B7A80
	v_and_b32_e32 v189, v189, v188                             // 00000000746C: 277B79BD
	v_accvgpr_write_b32 a68, v189                              // 000000007470: D3D94044 180001BD
	v_accvgpr_read_b32 v189, a84                               // 000000007478: D3D840BD 18000154
	v_cndmask_b32_e32 v189, 0, v189, vcc                       // 000000007480: 017B7A80
	v_and_b32_e32 v189, v189, v188                             // 000000007484: 277B79BD
	v_accvgpr_write_b32 a84, v189                              // 000000007488: D3D94054 180001BD
	s_mov_b32 s54, 0x44                                        // 000000007490: BEB600FF 00000044
	v_add_i32 v187, s54, v186                                  // 000000007498: D29C00BB 00037436
	v_cmp_lt_i32_e64 vcc, v187, 4                              // 0000000074A0: D0C1006A 000109BB
	v_min_u32_e32 v187, 4, v187                                // 0000000074A8: 1D777684
	v_lshlrev_b32_e32 v187, 3, v187                            // 0000000074AC: 25777683
	v_lshrrev_b32_e64 v188, v187, -1                           // 0000000074B0: D11000BC 000183BB
	v_accvgpr_read_b32 v189, a69                               // 0000000074B8: D3D840BD 18000145
	v_cndmask_b32_e32 v189, 0, v189, vcc                       // 0000000074C0: 017B7A80
	v_and_b32_e32 v189, v189, v188                             // 0000000074C4: 277B79BD
	v_accvgpr_write_b32 a69, v189                              // 0000000074C8: D3D94045 180001BD
	v_accvgpr_read_b32 v189, a85                               // 0000000074D0: D3D840BD 18000155
	v_cndmask_b32_e32 v189, 0, v189, vcc                       // 0000000074D8: 017B7A80
	v_and_b32_e32 v189, v189, v188                             // 0000000074DC: 277B79BD
	v_accvgpr_write_b32 a85, v189                              // 0000000074E0: D3D94055 180001BD
	s_mov_b32 s54, 0x48                                        // 0000000074E8: BEB600FF 00000048
	v_add_i32 v187, s54, v186                                  // 0000000074F0: D29C00BB 00037436
	v_cmp_lt_i32_e64 vcc, v187, 4                              // 0000000074F8: D0C1006A 000109BB
	v_min_u32_e32 v187, 4, v187                                // 000000007500: 1D777684
	v_lshlrev_b32_e32 v187, 3, v187                            // 000000007504: 25777683
	v_lshrrev_b32_e64 v188, v187, -1                           // 000000007508: D11000BC 000183BB
	v_accvgpr_read_b32 v189, a70                               // 000000007510: D3D840BD 18000146
	v_cndmask_b32_e32 v189, 0, v189, vcc                       // 000000007518: 017B7A80
	v_and_b32_e32 v189, v189, v188                             // 00000000751C: 277B79BD
	v_accvgpr_write_b32 a70, v189                              // 000000007520: D3D94046 180001BD
	v_accvgpr_read_b32 v189, a86                               // 000000007528: D3D840BD 18000156
	v_cndmask_b32_e32 v189, 0, v189, vcc                       // 000000007530: 017B7A80
	v_and_b32_e32 v189, v189, v188                             // 000000007534: 277B79BD
	v_accvgpr_write_b32 a86, v189                              // 000000007538: D3D94056 180001BD
	s_mov_b32 s54, 0x4c                                        // 000000007540: BEB600FF 0000004C
	v_add_i32 v187, s54, v186                                  // 000000007548: D29C00BB 00037436
	v_cmp_lt_i32_e64 vcc, v187, 4                              // 000000007550: D0C1006A 000109BB
	v_min_u32_e32 v187, 4, v187                                // 000000007558: 1D777684
	v_lshlrev_b32_e32 v187, 3, v187                            // 00000000755C: 25777683
	v_lshrrev_b32_e64 v188, v187, -1                           // 000000007560: D11000BC 000183BB
	v_accvgpr_read_b32 v189, a71                               // 000000007568: D3D840BD 18000147
	v_cndmask_b32_e32 v189, 0, v189, vcc                       // 000000007570: 017B7A80
	v_and_b32_e32 v189, v189, v188                             // 000000007574: 277B79BD
	v_accvgpr_write_b32 a71, v189                              // 000000007578: D3D94047 180001BD
	v_accvgpr_read_b32 v189, a87                               // 000000007580: D3D840BD 18000157
	v_cndmask_b32_e32 v189, 0, v189, vcc                       // 000000007588: 017B7A80
	v_and_b32_e32 v189, v189, v188                             // 00000000758C: 277B79BD
	v_accvgpr_write_b32 a87, v189                              // 000000007590: D3D94057 180001BD
	s_mov_b32 s54, 0x80                                        // 000000007598: BEB600FF 00000080
	v_add_i32 v187, s54, v186                                  // 0000000075A0: D29C00BB 00037436
	v_cmp_lt_i32_e64 vcc, v187, 4                              // 0000000075A8: D0C1006A 000109BB
	v_min_u32_e32 v187, 4, v187                                // 0000000075B0: 1D777684
	v_lshlrev_b32_e32 v187, 3, v187                            // 0000000075B4: 25777683
	v_lshrrev_b32_e64 v188, v187, -1                           // 0000000075B8: D11000BC 000183BB
	v_accvgpr_read_b32 v189, a72                               // 0000000075C0: D3D840BD 18000148
	v_cndmask_b32_e32 v189, 0, v189, vcc                       // 0000000075C8: 017B7A80
	v_and_b32_e32 v189, v189, v188                             // 0000000075CC: 277B79BD
	v_accvgpr_write_b32 a72, v189                              // 0000000075D0: D3D94048 180001BD
	v_accvgpr_read_b32 v189, a88                               // 0000000075D8: D3D840BD 18000158
	v_cndmask_b32_e32 v189, 0, v189, vcc                       // 0000000075E0: 017B7A80
	v_and_b32_e32 v189, v189, v188                             // 0000000075E4: 277B79BD
	v_accvgpr_write_b32 a88, v189                              // 0000000075E8: D3D94058 180001BD
	s_mov_b32 s54, 0x84                                        // 0000000075F0: BEB600FF 00000084
	v_add_i32 v187, s54, v186                                  // 0000000075F8: D29C00BB 00037436
	v_cmp_lt_i32_e64 vcc, v187, 4                              // 000000007600: D0C1006A 000109BB
	v_min_u32_e32 v187, 4, v187                                // 000000007608: 1D777684
	v_lshlrev_b32_e32 v187, 3, v187                            // 00000000760C: 25777683
	v_lshrrev_b32_e64 v188, v187, -1                           // 000000007610: D11000BC 000183BB
	v_accvgpr_read_b32 v189, a73                               // 000000007618: D3D840BD 18000149
	v_cndmask_b32_e32 v189, 0, v189, vcc                       // 000000007620: 017B7A80
	v_and_b32_e32 v189, v189, v188                             // 000000007624: 277B79BD
	v_accvgpr_write_b32 a73, v189                              // 000000007628: D3D94049 180001BD
	v_accvgpr_read_b32 v189, a89                               // 000000007630: D3D840BD 18000159
	v_cndmask_b32_e32 v189, 0, v189, vcc                       // 000000007638: 017B7A80
	v_and_b32_e32 v189, v189, v188                             // 00000000763C: 277B79BD
	v_accvgpr_write_b32 a89, v189                              // 000000007640: D3D94059 180001BD
	s_mov_b32 s54, 0x88                                        // 000000007648: BEB600FF 00000088
	v_add_i32 v187, s54, v186                                  // 000000007650: D29C00BB 00037436
	v_cmp_lt_i32_e64 vcc, v187, 4                              // 000000007658: D0C1006A 000109BB
	v_min_u32_e32 v187, 4, v187                                // 000000007660: 1D777684
	v_lshlrev_b32_e32 v187, 3, v187                            // 000000007664: 25777683
	v_lshrrev_b32_e64 v188, v187, -1                           // 000000007668: D11000BC 000183BB
	v_accvgpr_read_b32 v189, a74                               // 000000007670: D3D840BD 1800014A
	v_cndmask_b32_e32 v189, 0, v189, vcc                       // 000000007678: 017B7A80
	v_and_b32_e32 v189, v189, v188                             // 00000000767C: 277B79BD
	v_accvgpr_write_b32 a74, v189                              // 000000007680: D3D9404A 180001BD
	v_accvgpr_read_b32 v189, a90                               // 000000007688: D3D840BD 1800015A
	v_cndmask_b32_e32 v189, 0, v189, vcc                       // 000000007690: 017B7A80
	v_and_b32_e32 v189, v189, v188                             // 000000007694: 277B79BD
	v_accvgpr_write_b32 a90, v189                              // 000000007698: D3D9405A 180001BD
	s_mov_b32 s54, 0x8c                                        // 0000000076A0: BEB600FF 0000008C
	v_add_i32 v187, s54, v186                                  // 0000000076A8: D29C00BB 00037436
	v_cmp_lt_i32_e64 vcc, v187, 4                              // 0000000076B0: D0C1006A 000109BB
	v_min_u32_e32 v187, 4, v187                                // 0000000076B8: 1D777684
	v_lshlrev_b32_e32 v187, 3, v187                            // 0000000076BC: 25777683
	v_lshrrev_b32_e64 v188, v187, -1                           // 0000000076C0: D11000BC 000183BB
	v_accvgpr_read_b32 v189, a75                               // 0000000076C8: D3D840BD 1800014B
	v_cndmask_b32_e32 v189, 0, v189, vcc                       // 0000000076D0: 017B7A80
	v_and_b32_e32 v189, v189, v188                             // 0000000076D4: 277B79BD
	v_accvgpr_write_b32 a75, v189                              // 0000000076D8: D3D9404B 180001BD
	v_accvgpr_read_b32 v189, a91                               // 0000000076E0: D3D840BD 1800015B
	v_cndmask_b32_e32 v189, 0, v189, vcc                       // 0000000076E8: 017B7A80
	v_and_b32_e32 v189, v189, v188                             // 0000000076EC: 277B79BD
	v_accvgpr_write_b32 a91, v189                              // 0000000076F0: D3D9405B 180001BD
	s_mov_b32 s54, 0xc0                                        // 0000000076F8: BEB600FF 000000C0
	v_add_i32 v187, s54, v186                                  // 000000007700: D29C00BB 00037436
	v_cmp_lt_i32_e64 vcc, v187, 4                              // 000000007708: D0C1006A 000109BB
	v_min_u32_e32 v187, 4, v187                                // 000000007710: 1D777684
	v_lshlrev_b32_e32 v187, 3, v187                            // 000000007714: 25777683
	v_lshrrev_b32_e64 v188, v187, -1                           // 000000007718: D11000BC 000183BB
	v_accvgpr_read_b32 v189, a76                               // 000000007720: D3D840BD 1800014C
	v_cndmask_b32_e32 v189, 0, v189, vcc                       // 000000007728: 017B7A80
	v_and_b32_e32 v189, v189, v188                             // 00000000772C: 277B79BD
	v_accvgpr_write_b32 a76, v189                              // 000000007730: D3D9404C 180001BD
	v_accvgpr_read_b32 v189, a92                               // 000000007738: D3D840BD 1800015C
	v_cndmask_b32_e32 v189, 0, v189, vcc                       // 000000007740: 017B7A80
	v_and_b32_e32 v189, v189, v188                             // 000000007744: 277B79BD
	v_accvgpr_write_b32 a92, v189                              // 000000007748: D3D9405C 180001BD
	s_mov_b32 s54, 0xc4                                        // 000000007750: BEB600FF 000000C4
	v_add_i32 v187, s54, v186                                  // 000000007758: D29C00BB 00037436
	v_cmp_lt_i32_e64 vcc, v187, 4                              // 000000007760: D0C1006A 000109BB
	v_min_u32_e32 v187, 4, v187                                // 000000007768: 1D777684
	v_lshlrev_b32_e32 v187, 3, v187                            // 00000000776C: 25777683
	v_lshrrev_b32_e64 v188, v187, -1                           // 000000007770: D11000BC 000183BB
	v_accvgpr_read_b32 v189, a77                               // 000000007778: D3D840BD 1800014D
	v_cndmask_b32_e32 v189, 0, v189, vcc                       // 000000007780: 017B7A80
	v_and_b32_e32 v189, v189, v188                             // 000000007784: 277B79BD
	v_accvgpr_write_b32 a77, v189                              // 000000007788: D3D9404D 180001BD
	v_accvgpr_read_b32 v189, a93                               // 000000007790: D3D840BD 1800015D
	v_cndmask_b32_e32 v189, 0, v189, vcc                       // 000000007798: 017B7A80
	v_and_b32_e32 v189, v189, v188                             // 00000000779C: 277B79BD
	v_accvgpr_write_b32 a93, v189                              // 0000000077A0: D3D9405D 180001BD
	s_mov_b32 s54, 0xc8                                        // 0000000077A8: BEB600FF 000000C8
	v_add_i32 v187, s54, v186                                  // 0000000077B0: D29C00BB 00037436
	v_cmp_lt_i32_e64 vcc, v187, 4                              // 0000000077B8: D0C1006A 000109BB
	v_min_u32_e32 v187, 4, v187                                // 0000000077C0: 1D777684
	v_lshlrev_b32_e32 v187, 3, v187                            // 0000000077C4: 25777683
	v_lshrrev_b32_e64 v188, v187, -1                           // 0000000077C8: D11000BC 000183BB
	v_accvgpr_read_b32 v189, a78                               // 0000000077D0: D3D840BD 1800014E
	v_cndmask_b32_e32 v189, 0, v189, vcc                       // 0000000077D8: 017B7A80
	v_and_b32_e32 v189, v189, v188                             // 0000000077DC: 277B79BD
	v_accvgpr_write_b32 a78, v189                              // 0000000077E0: D3D9404E 180001BD
	v_accvgpr_read_b32 v189, a94                               // 0000000077E8: D3D840BD 1800015E
	v_cndmask_b32_e32 v189, 0, v189, vcc                       // 0000000077F0: 017B7A80
	v_and_b32_e32 v189, v189, v188                             // 0000000077F4: 277B79BD
	v_accvgpr_write_b32 a94, v189                              // 0000000077F8: D3D9405E 180001BD
	s_mov_b32 s54, 0xcc                                        // 000000007800: BEB600FF 000000CC
	v_add_i32 v187, s54, v186                                  // 000000007808: D29C00BB 00037436
	v_cmp_lt_i32_e64 vcc, v187, 4                              // 000000007810: D0C1006A 000109BB
	v_min_u32_e32 v187, 4, v187                                // 000000007818: 1D777684
	v_lshlrev_b32_e32 v187, 3, v187                            // 00000000781C: 25777683
	v_lshrrev_b32_e64 v188, v187, -1                           // 000000007820: D11000BC 000183BB
	v_accvgpr_read_b32 v189, a79                               // 000000007828: D3D840BD 1800014F
	v_cndmask_b32_e32 v189, 0, v189, vcc                       // 000000007830: 017B7A80
	v_and_b32_e32 v189, v189, v188                             // 000000007834: 277B79BD
	v_accvgpr_write_b32 a79, v189                              // 000000007838: D3D9404F 180001BD
	v_accvgpr_read_b32 v189, a95                               // 000000007840: D3D840BD 1800015F
	v_cndmask_b32_e32 v189, 0, v189, vcc                       // 000000007848: 017B7A80
	v_and_b32_e32 v189, v189, v188                             // 00000000784C: 277B79BD
	v_accvgpr_write_b32 a95, v189                              // 000000007850: D3D9405F 180001BD
	s_waitcnt lgkmcnt(7)                                       // 000000007858: BF8CC77F
	v_mfma_f32_16x16x32_fp8_fp8 v[92:95], a[64:65], v[28:29], 0// 00000000785C: D3F3005C 0A023940
	v_mfma_f32_16x16x32_fp8_fp8 v[96:99], a[80:81], v[28:29], 0// 000000007864: D3F30060 0A023950
	v_mfma_f32_16x16x32_fp8_fp8 v[92:95], a[66:67], v[30:31], v[92:95]// 00000000786C: D3F3005C 0D723D42
	buffer_load_dwordx4 a[96:99], v204, s[16:19], 0 offen      // 000000007874: E05C1000 808460CC
	v_mfma_f32_16x16x32_fp8_fp8 v[96:99], a[82:83], v[30:31], v[96:99]// 00000000787C: D3F30060 0D823D52
	s_waitcnt lgkmcnt(6)                                       // 000000007884: BF8CC67F
	v_mfma_f32_16x16x32_fp8_fp8 v[92:95], a[68:69], v[32:33], v[92:95]// 000000007888: D3F3005C 0D724144
	v_mfma_f32_16x16x32_fp8_fp8 v[96:99], a[84:85], v[32:33], v[96:99]// 000000007890: D3F30060 0D824154
	v_mfma_f32_16x16x32_fp8_fp8 v[92:95], a[70:71], v[34:35], v[92:95]// 000000007898: D3F3005C 0D724546
	buffer_load_dwordx4 a[100:103], v205, s[16:19], 0 offen    // 0000000078A0: E05C1000 808464CD
	v_mfma_f32_16x16x32_fp8_fp8 v[96:99], a[86:87], v[34:35], v[96:99]// 0000000078A8: D3F30060 0D824556
	s_waitcnt lgkmcnt(5)                                       // 0000000078B0: BF8CC57F
	v_mfma_f32_16x16x32_fp8_fp8 v[92:95], a[72:73], v[36:37], v[92:95]// 0000000078B4: D3F3005C 0D724948
	v_mfma_f32_16x16x32_fp8_fp8 v[96:99], a[88:89], v[36:37], v[96:99]// 0000000078BC: D3F30060 0D824958
	v_mfma_f32_16x16x32_fp8_fp8 v[92:95], a[74:75], v[38:39], v[92:95]// 0000000078C4: D3F3005C 0D724D4A
	buffer_load_dwordx4 a[104:107], v206, s[16:19], 0 offen    // 0000000078CC: E05C1000 808468CE
	v_mfma_f32_16x16x32_fp8_fp8 v[96:99], a[90:91], v[38:39], v[96:99]// 0000000078D4: D3F30060 0D824D5A
	s_waitcnt lgkmcnt(4)                                       // 0000000078DC: BF8CC47F
	v_mfma_f32_16x16x32_fp8_fp8 v[92:95], a[76:77], v[40:41], v[92:95]// 0000000078E0: D3F3005C 0D72514C
	v_mfma_f32_16x16x32_fp8_fp8 v[96:99], a[92:93], v[40:41], v[96:99]// 0000000078E8: D3F30060 0D82515C
	v_mfma_f32_16x16x32_fp8_fp8 v[92:95], a[78:79], v[42:43], v[92:95]// 0000000078F0: D3F3005C 0D72554E
	buffer_load_dwordx4 a[108:111], v207, s[16:19], 0 offen    // 0000000078F8: E05C1000 80846CCF
	v_mfma_f32_16x16x32_fp8_fp8 v[96:99], a[94:95], v[42:43], v[96:99]// 000000007900: D3F30060 0D82555E
	s_waitcnt lgkmcnt(3)                                       // 000000007908: BF8CC37F
	v_mfma_f32_16x16x32_fp8_fp8 v[100:103], a[64:65], v[44:45], 0// 00000000790C: D3F30064 0A025940
	v_mfma_f32_16x16x32_fp8_fp8 v[104:107], a[80:81], v[44:45], 0// 000000007914: D3F30068 0A025950
	v_mfma_f32_16x16x32_fp8_fp8 v[100:103], a[66:67], v[46:47], v[100:103]// 00000000791C: D3F30064 0D925D42
	buffer_load_dwordx4 a[112:115], v204, s[16:19], 0 offen offset:1024// 000000007924: E05C1400 808470CC
	v_mfma_f32_16x16x32_fp8_fp8 v[104:107], a[82:83], v[46:47], v[104:107]// 00000000792C: D3F30068 0DA25D52
	s_waitcnt lgkmcnt(2)                                       // 000000007934: BF8CC27F
	v_mfma_f32_16x16x32_fp8_fp8 v[100:103], a[68:69], v[48:49], v[100:103]// 000000007938: D3F30064 0D926144
	v_mfma_f32_16x16x32_fp8_fp8 v[104:107], a[84:85], v[48:49], v[104:107]// 000000007940: D3F30068 0DA26154
	v_mfma_f32_16x16x32_fp8_fp8 v[100:103], a[70:71], v[50:51], v[100:103]// 000000007948: D3F30064 0D926546
	buffer_load_dwordx4 a[116:119], v205, s[16:19], 0 offen offset:1024// 000000007950: E05C1400 808474CD
	v_mfma_f32_16x16x32_fp8_fp8 v[104:107], a[86:87], v[50:51], v[104:107]// 000000007958: D3F30068 0DA26556
	s_waitcnt lgkmcnt(1)                                       // 000000007960: BF8CC17F
	v_mfma_f32_16x16x32_fp8_fp8 v[100:103], a[72:73], v[52:53], v[100:103]// 000000007964: D3F30064 0D926948
	v_mfma_f32_16x16x32_fp8_fp8 v[104:107], a[88:89], v[52:53], v[104:107]// 00000000796C: D3F30068 0DA26958
	v_mfma_f32_16x16x32_fp8_fp8 v[100:103], a[74:75], v[54:55], v[100:103]// 000000007974: D3F30064 0D926D4A
	buffer_load_dwordx4 a[120:123], v206, s[16:19], 0 offen offset:1024// 00000000797C: E05C1400 808478CE
	v_mfma_f32_16x16x32_fp8_fp8 v[104:107], a[90:91], v[54:55], v[104:107]// 000000007984: D3F30068 0DA26D5A
	s_waitcnt lgkmcnt(0)                                       // 00000000798C: BF8CC07F
	v_mfma_f32_16x16x32_fp8_fp8 v[100:103], a[76:77], v[56:57], v[100:103]// 000000007990: D3F30064 0D92714C
	v_mfma_f32_16x16x32_fp8_fp8 v[104:107], a[92:93], v[56:57], v[104:107]// 000000007998: D3F30068 0DA2715C
	v_mfma_f32_16x16x32_fp8_fp8 v[100:103], a[78:79], v[58:59], v[100:103]// 0000000079A0: D3F30064 0D92754E
	buffer_load_dwordx4 a[124:127], v207, s[16:19], 0 offen offset:1024// 0000000079A8: E05C1400 80847CCF
	v_mfma_f32_16x16x32_fp8_fp8 v[104:107], a[94:95], v[58:59], v[104:107]// 0000000079B0: D3F30068 0DA2755E
	s_addk_i32 s64, 0x100                                      // 0000000079B8: B7400100
	s_branch label_14F0                                        // 0000000079BC: BF820000

00000000000079c0 <label_14F0>:
	s_cmp_lt_i32 s64, s62                                      // 0000000079C0: BF043E40
	s_cbranch_scc0 label_1A82                                  // 0000000079C4: BF840590
	s_waitcnt vmcnt(10)                                        // 0000000079C8: BF8C0F7A
	s_lshl_b32 s68, s76, 2                                     // 0000000079CC: 8E44824C
	s_cmp_lt_u32 s76, s77                                      // 0000000079D0: BF0A4D4C
	s_cselect_b32 s68, s68, 0                                  // 0000000079D4: 85448044
	s_addk_i32 s76, 0x1                                        // 0000000079D8: B74C0001
	s_load_dword s59, s[42:43], s68                            // 0000000079DC: C0000ED5 00000044
	s_waitcnt lgkmcnt(0)                                       // 0000000079E4: BF8CC07F
	s_mul_i32 s69, s59, s50                                    // 0000000079E8: 9245323B
	s_mul_i32 s71, s59, s66                                    // 0000000079EC: 9247423B
	s_mul_i32 s54, s78, s51                                    // 0000000079F0: 9236334E
	s_add_u32 s69, s69, s54                                    // 0000000079F4: 80453645
	s_mov_b32 s70, s69                                         // 0000000079F8: BEC60045
	s_mul_i32 s54, s78, 4                                      // 0000000079FC: 9236844E
	s_add_u32 s71, s71, s54                                    // 000000007A00: 80473647
	s_add_u32 s12, s86, s69                                    // 000000007A04: 800C4556
	s_addc_u32 s13, s87, 0                                     // 000000007A08: 820D8057
	s_add_u32 s16, s88, s70                                    // 000000007A0C: 80104658
	s_addc_u32 s17, s89, 0                                     // 000000007A10: 82118059
	s_add_u32 s20, s90, s71                                    // 000000007A14: 8014475A
	s_addc_u32 s21, s91, 0                                     // 000000007A18: 8215805B
	s_add_u32 s24, s92, s71                                    // 000000007A1C: 8018475C
	s_addc_u32 s25, s93, 0                                     // 000000007A20: 8219805D
	v_mfma_f32_16x16x32_fp8_fp8 v[28:31], a[32:33], v[12:13], 0// 000000007A24: D3F3001C 0A021920
	v_mfma_f32_16x16x32_fp8_fp8 v[28:31], a[34:35], v[14:15], v[28:31]// 000000007A2C: D3F3001C 0C721D22
	v_mfma_f32_16x16x32_fp8_fp8 v[28:31], a[36:37], v[16:17], v[28:31]// 000000007A34: D3F3001C 0C722124
	buffer_load_dwordx4 a[0:3], v202, s[12:15], 0 offen        // 000000007A3C: E05C1000 808300CA
	v_mfma_f32_16x16x32_fp8_fp8 v[28:31], a[38:39], v[18:19], v[28:31]// 000000007A44: D3F3001C 0C722526
	v_mfma_f32_16x16x32_fp8_fp8 v[32:35], a[40:41], v[12:13], 0// 000000007A4C: D3F30020 0A021928
	v_mfma_f32_16x16x32_fp8_fp8 v[32:35], a[42:43], v[14:15], v[32:35]// 000000007A54: D3F30020 0C821D2A
	v_mfma_f32_16x16x32_fp8_fp8 v[32:35], a[44:45], v[16:17], v[32:35]// 000000007A5C: D3F30020 0C82212C
	buffer_load_dwordx4 a[4:7], v203, s[12:15], 0 offen        // 000000007A64: E05C1000 808304CB
	v_mfma_f32_16x16x32_fp8_fp8 v[32:35], a[46:47], v[18:19], v[32:35]// 000000007A6C: D3F30020 0C82252E
	v_mfma_f32_16x16x32_fp8_fp8 v[36:39], a[48:49], v[12:13], 0// 000000007A74: D3F30024 0A021930
	v_mfma_f32_16x16x32_fp8_fp8 v[36:39], a[50:51], v[14:15], v[36:39]// 000000007A7C: D3F30024 0C921D32
	v_mfma_f32_16x16x32_fp8_fp8 v[36:39], a[52:53], v[16:17], v[36:39]// 000000007A84: D3F30024 0C922134
	buffer_load_dwordx4 a[8:11], v202, s[12:15], 0 offen offset:1024// 000000007A8C: E05C1400 808308CA
	v_mfma_f32_16x16x32_fp8_fp8 v[36:39], a[54:55], v[18:19], v[36:39]// 000000007A94: D3F30024 0C922536
	v_mfma_f32_16x16x32_fp8_fp8 v[40:43], a[56:57], v[12:13], 0// 000000007A9C: D3F30028 0A021938
	v_mfma_f32_16x16x32_fp8_fp8 v[40:43], a[58:59], v[14:15], v[40:43]// 000000007AA4: D3F30028 0CA21D3A
	v_mfma_f32_16x16x32_fp8_fp8 v[40:43], a[60:61], v[16:17], v[40:43]// 000000007AAC: D3F30028 0CA2213C
	buffer_load_dwordx4 a[12:15], v203, s[12:15], 0 offen offset:1024// 000000007AB4: E05C1400 80830CCB
	v_mfma_f32_16x16x32_fp8_fp8 v[40:43], a[62:63], v[18:19], v[40:43]// 000000007ABC: D3F30028 0CA2253E
	v_mfma_f32_16x16x32_fp8_fp8 v[44:47], a[32:33], v[20:21], 0// 000000007AC4: D3F3002C 0A022920
	v_mfma_f32_16x16x32_fp8_fp8 v[44:47], a[34:35], v[22:23], v[44:47]// 000000007ACC: D3F3002C 0CB22D22
	v_mfma_f32_16x16x32_fp8_fp8 v[44:47], a[36:37], v[24:25], v[44:47]// 000000007AD4: D3F3002C 0CB23124
	buffer_load_dwordx4 a[16:19], v202, s[12:15], 0 offen offset:2048// 000000007ADC: E05C1800 808310CA
	v_mfma_f32_16x16x32_fp8_fp8 v[44:47], a[38:39], v[26:27], v[44:47]// 000000007AE4: D3F3002C 0CB23526
	v_mfma_f32_16x16x32_fp8_fp8 v[48:51], a[40:41], v[20:21], 0// 000000007AEC: D3F30030 0A022928
	v_mfma_f32_16x16x32_fp8_fp8 v[48:51], a[42:43], v[22:23], v[48:51]// 000000007AF4: D3F30030 0CC22D2A
	v_mfma_f32_16x16x32_fp8_fp8 v[48:51], a[44:45], v[24:25], v[48:51]// 000000007AFC: D3F30030 0CC2312C
	buffer_load_dwordx4 a[20:23], v203, s[12:15], 0 offen offset:2048// 000000007B04: E05C1800 808314CB
	v_mfma_f32_16x16x32_fp8_fp8 v[48:51], a[46:47], v[26:27], v[48:51]// 000000007B0C: D3F30030 0CC2352E
	v_mfma_f32_16x16x32_fp8_fp8 v[52:55], a[48:49], v[20:21], 0// 000000007B14: D3F30034 0A022930
	v_mfma_f32_16x16x32_fp8_fp8 v[52:55], a[50:51], v[22:23], v[52:55]// 000000007B1C: D3F30034 0CD22D32
	v_mfma_f32_16x16x32_fp8_fp8 v[52:55], a[52:53], v[24:25], v[52:55]// 000000007B24: D3F30034 0CD23134
	buffer_load_dwordx4 a[24:27], v202, s[12:15], 0 offen offset:3072// 000000007B2C: E05C1C00 808318CA
	v_mfma_f32_16x16x32_fp8_fp8 v[52:55], a[54:55], v[26:27], v[52:55]// 000000007B34: D3F30034 0CD23536
	v_mfma_f32_16x16x32_fp8_fp8 v[56:59], a[56:57], v[20:21], 0// 000000007B3C: D3F30038 0A022938
	v_mfma_f32_16x16x32_fp8_fp8 v[56:59], a[58:59], v[22:23], v[56:59]// 000000007B44: D3F30038 0CE22D3A
	v_mfma_f32_16x16x32_fp8_fp8 v[56:59], a[60:61], v[24:25], v[56:59]// 000000007B4C: D3F30038 0CE2313C
	buffer_load_dwordx4 a[28:31], v203, s[12:15], 0 offen offset:3072// 000000007B54: E05C1C00 80831CCB
	v_mfma_f32_16x16x32_fp8_fp8 v[56:59], a[62:63], v[26:27], v[56:59]// 000000007B5C: D3F30038 0CE2353E
	s_waitcnt vmcnt(16)                                        // 000000007B64: BF8C4F70
	v_pk_mul_f32 v[28:29], v[124:125], v[28:29]                // 000000007B68: D3B1401C 1802397C
	v_pk_mul_f32 v[30:31], v[124:125], v[30:31]                // 000000007B70: D3B1401E 18023D7C
	v_mul_f32_dpp v28, v129, v28 row_newbcast:0 row_mask:0xf bank_mask:0xf// 000000007B78: 0A3838FA FF015081
	v_mul_f32_dpp v29, v129, v29 row_newbcast:1 row_mask:0xf bank_mask:0xf// 000000007B80: 0A3A3AFA FF015181
	v_mul_f32_dpp v30, v129, v30 row_newbcast:2 row_mask:0xf bank_mask:0xf// 000000007B88: 0A3C3CFA FF015281
	v_mul_f32_dpp v31, v129, v31 row_newbcast:3 row_mask:0xf bank_mask:0xf// 000000007B90: 0A3E3EFA FF015381
	v_pk_mul_f32 v[32:33], v[124:125], v[32:33]                // 000000007B98: D3B14020 1802417C
	v_pk_mul_f32 v[34:35], v[124:125], v[34:35]                // 000000007BA0: D3B14022 1802457C
	v_mul_f32_dpp v32, v129, v32 row_newbcast:4 row_mask:0xf bank_mask:0xf// 000000007BA8: 0A4040FA FF015481
	v_mul_f32_dpp v33, v129, v33 row_newbcast:5 row_mask:0xf bank_mask:0xf// 000000007BB0: 0A4242FA FF015581
	v_mul_f32_dpp v34, v129, v34 row_newbcast:6 row_mask:0xf bank_mask:0xf// 000000007BB8: 0A4444FA FF015681
	v_mul_f32_dpp v35, v129, v35 row_newbcast:7 row_mask:0xf bank_mask:0xf// 000000007BC0: 0A4646FA FF015781
	v_pk_mul_f32 v[36:37], v[124:125], v[36:37]                // 000000007BC8: D3B14024 1802497C
	v_pk_mul_f32 v[38:39], v[124:125], v[38:39]                // 000000007BD0: D3B14026 18024D7C
	v_mul_f32_dpp v36, v129, v36 row_newbcast:8 row_mask:0xf bank_mask:0xf// 000000007BD8: 0A4848FA FF015881
	v_mul_f32_dpp v37, v129, v37 row_newbcast:9 row_mask:0xf bank_mask:0xf// 000000007BE0: 0A4A4AFA FF015981
	v_mul_f32_dpp v38, v129, v38 row_newbcast:10 row_mask:0xf bank_mask:0xf// 000000007BE8: 0A4C4CFA FF015A81
	v_mul_f32_dpp v39, v129, v39 row_newbcast:11 row_mask:0xf bank_mask:0xf// 000000007BF0: 0A4E4EFA FF015B81
	v_pk_mul_f32 v[40:41], v[124:125], v[40:41]                // 000000007BF8: D3B14028 1802517C
	v_pk_mul_f32 v[42:43], v[124:125], v[42:43]                // 000000007C00: D3B1402A 1802557C
	v_mul_f32_dpp v40, v129, v40 row_newbcast:12 row_mask:0xf bank_mask:0xf// 000000007C08: 0A5050FA FF015C81
	v_mul_f32_dpp v41, v129, v41 row_newbcast:13 row_mask:0xf bank_mask:0xf// 000000007C10: 0A5252FA FF015D81
	v_mul_f32_dpp v42, v129, v42 row_newbcast:14 row_mask:0xf bank_mask:0xf// 000000007C18: 0A5454FA FF015E81
	v_mul_f32_dpp v43, v129, v43 row_newbcast:15 row_mask:0xf bank_mask:0xf// 000000007C20: 0A5656FA FF015F81
	v_pk_mul_f32 v[44:45], v[126:127], v[44:45]                // 000000007C28: D3B1402C 1802597E
	v_pk_mul_f32 v[46:47], v[126:127], v[46:47]                // 000000007C30: D3B1402E 18025D7E
	v_mul_f32_dpp v44, v129, v44 row_newbcast:0 row_mask:0xf bank_mask:0xf// 000000007C38: 0A5858FA FF015081
	v_mul_f32_dpp v45, v129, v45 row_newbcast:1 row_mask:0xf bank_mask:0xf// 000000007C40: 0A5A5AFA FF015181
	v_mul_f32_dpp v46, v129, v46 row_newbcast:2 row_mask:0xf bank_mask:0xf// 000000007C48: 0A5C5CFA FF015281
	v_mul_f32_dpp v47, v129, v47 row_newbcast:3 row_mask:0xf bank_mask:0xf// 000000007C50: 0A5E5EFA FF015381
	v_pk_mul_f32 v[48:49], v[126:127], v[48:49]                // 000000007C58: D3B14030 1802617E
	v_pk_mul_f32 v[50:51], v[126:127], v[50:51]                // 000000007C60: D3B14032 1802657E
	v_mul_f32_dpp v48, v129, v48 row_newbcast:4 row_mask:0xf bank_mask:0xf// 000000007C68: 0A6060FA FF015481
	v_mul_f32_dpp v49, v129, v49 row_newbcast:5 row_mask:0xf bank_mask:0xf// 000000007C70: 0A6262FA FF015581
	v_mul_f32_dpp v50, v129, v50 row_newbcast:6 row_mask:0xf bank_mask:0xf// 000000007C78: 0A6464FA FF015681
	v_mul_f32_dpp v51, v129, v51 row_newbcast:7 row_mask:0xf bank_mask:0xf// 000000007C80: 0A6666FA FF015781
	v_pk_mul_f32 v[52:53], v[126:127], v[52:53]                // 000000007C88: D3B14034 1802697E
	v_pk_mul_f32 v[54:55], v[126:127], v[54:55]                // 000000007C90: D3B14036 18026D7E
	v_mul_f32_dpp v52, v129, v52 row_newbcast:8 row_mask:0xf bank_mask:0xf// 000000007C98: 0A6868FA FF015881
	v_mul_f32_dpp v53, v129, v53 row_newbcast:9 row_mask:0xf bank_mask:0xf// 000000007CA0: 0A6A6AFA FF015981
	v_mul_f32_dpp v54, v129, v54 row_newbcast:10 row_mask:0xf bank_mask:0xf// 000000007CA8: 0A6C6CFA FF015A81
	v_mul_f32_dpp v55, v129, v55 row_newbcast:11 row_mask:0xf bank_mask:0xf// 000000007CB0: 0A6E6EFA FF015B81
	v_pk_mul_f32 v[56:57], v[126:127], v[56:57]                // 000000007CB8: D3B14038 1802717E
	v_pk_mul_f32 v[58:59], v[126:127], v[58:59]                // 000000007CC0: D3B1403A 1802757E
	v_mul_f32_dpp v56, v129, v56 row_newbcast:12 row_mask:0xf bank_mask:0xf// 000000007CC8: 0A7070FA FF015C81
	v_mul_f32_dpp v57, v129, v57 row_newbcast:13 row_mask:0xf bank_mask:0xf// 000000007CD0: 0A7272FA FF015D81
	v_mul_f32_dpp v58, v129, v58 row_newbcast:14 row_mask:0xf bank_mask:0xf// 000000007CD8: 0A7474FA FF015E81
	v_mul_f32_dpp v59, v129, v59 row_newbcast:15 row_mask:0xf bank_mask:0xf// 000000007CE0: 0A7676FA FF015F81
	v_add_u32_e32 v186, s64, v196                              // 000000007CE8: 69758840
	v_add_u32_e32 v187, 0, v186                                // 000000007CEC: 69777480
	v_cmp_lt_u32_e64 s[98:99], v187, v194                      // 000000007CF0: D0C90062 000385BB
	s_nop 0                                                    // 000000007CF8: BF800000
	v_cndmask_b32_e64 v28, v197, v28, s[98:99]                 // 000000007CFC: D100001C 018A39C5
	v_add_u32_e32 v187, 1, v186                                // 000000007D04: 69777481
	v_cmp_lt_u32_e64 s[98:99], v187, v194                      // 000000007D08: D0C90062 000385BB
	s_nop 0                                                    // 000000007D10: BF800000
	v_cndmask_b32_e64 v29, v197, v29, s[98:99]                 // 000000007D14: D100001D 018A3BC5
	v_add_u32_e32 v187, 2, v186                                // 000000007D1C: 69777482
	v_cmp_lt_u32_e64 s[98:99], v187, v194                      // 000000007D20: D0C90062 000385BB
	s_nop 0                                                    // 000000007D28: BF800000
	v_cndmask_b32_e64 v30, v197, v30, s[98:99]                 // 000000007D2C: D100001E 018A3DC5
	v_add_u32_e32 v187, 3, v186                                // 000000007D34: 69777483
	v_cmp_lt_u32_e64 s[98:99], v187, v194                      // 000000007D38: D0C90062 000385BB
	s_nop 0                                                    // 000000007D40: BF800000
	v_cndmask_b32_e64 v31, v197, v31, s[98:99]                 // 000000007D44: D100001F 018A3FC5
	v_add_u32_e32 v187, 64, v186                               // 000000007D4C: 697774C0
	v_cmp_lt_u32_e64 s[98:99], v187, v194                      // 000000007D50: D0C90062 000385BB
	s_nop 0                                                    // 000000007D58: BF800000
	v_cndmask_b32_e64 v32, v197, v32, s[98:99]                 // 000000007D5C: D1000020 018A41C5
	v_add_u32_e32 v187, 0x41, v186                             // 000000007D64: 697774FF 00000041
	v_cmp_lt_u32_e64 s[98:99], v187, v194                      // 000000007D6C: D0C90062 000385BB
	s_nop 0                                                    // 000000007D74: BF800000
	v_cndmask_b32_e64 v33, v197, v33, s[98:99]                 // 000000007D78: D1000021 018A43C5
	v_add_u32_e32 v187, 0x42, v186                             // 000000007D80: 697774FF 00000042
	v_cmp_lt_u32_e64 s[98:99], v187, v194                      // 000000007D88: D0C90062 000385BB
	s_nop 0                                                    // 000000007D90: BF800000
	v_cndmask_b32_e64 v34, v197, v34, s[98:99]                 // 000000007D94: D1000022 018A45C5
	v_add_u32_e32 v187, 0x43, v186                             // 000000007D9C: 697774FF 00000043
	v_cmp_lt_u32_e64 s[98:99], v187, v194                      // 000000007DA4: D0C90062 000385BB
	s_nop 0                                                    // 000000007DAC: BF800000
	v_cndmask_b32_e64 v35, v197, v35, s[98:99]                 // 000000007DB0: D1000023 018A47C5
	v_add_u32_e32 v187, 0x80, v186                             // 000000007DB8: 697774FF 00000080
	v_cmp_lt_u32_e64 s[98:99], v187, v194                      // 000000007DC0: D0C90062 000385BB
	s_nop 0                                                    // 000000007DC8: BF800000
	v_cndmask_b32_e64 v36, v197, v36, s[98:99]                 // 000000007DCC: D1000024 018A49C5
	v_add_u32_e32 v187, 0x81, v186                             // 000000007DD4: 697774FF 00000081
	v_cmp_lt_u32_e64 s[98:99], v187, v194                      // 000000007DDC: D0C90062 000385BB
	s_nop 0                                                    // 000000007DE4: BF800000
	v_cndmask_b32_e64 v37, v197, v37, s[98:99]                 // 000000007DE8: D1000025 018A4BC5
	v_add_u32_e32 v187, 0x82, v186                             // 000000007DF0: 697774FF 00000082
	v_cmp_lt_u32_e64 s[98:99], v187, v194                      // 000000007DF8: D0C90062 000385BB
	s_nop 0                                                    // 000000007E00: BF800000
	v_cndmask_b32_e64 v38, v197, v38, s[98:99]                 // 000000007E04: D1000026 018A4DC5
	v_add_u32_e32 v187, 0x83, v186                             // 000000007E0C: 697774FF 00000083
	v_cmp_lt_u32_e64 s[98:99], v187, v194                      // 000000007E14: D0C90062 000385BB
	s_nop 0                                                    // 000000007E1C: BF800000
	v_cndmask_b32_e64 v39, v197, v39, s[98:99]                 // 000000007E20: D1000027 018A4FC5
	v_add_u32_e32 v187, 0xc0, v186                             // 000000007E28: 697774FF 000000C0
	v_cmp_lt_u32_e64 s[98:99], v187, v194                      // 000000007E30: D0C90062 000385BB
	s_nop 0                                                    // 000000007E38: BF800000
	v_cndmask_b32_e64 v40, v197, v40, s[98:99]                 // 000000007E3C: D1000028 018A51C5
	v_add_u32_e32 v187, 0xc1, v186                             // 000000007E44: 697774FF 000000C1
	v_cmp_lt_u32_e64 s[98:99], v187, v194                      // 000000007E4C: D0C90062 000385BB
	s_nop 0                                                    // 000000007E54: BF800000
	v_cndmask_b32_e64 v41, v197, v41, s[98:99]                 // 000000007E58: D1000029 018A53C5
	v_add_u32_e32 v187, 0xc2, v186                             // 000000007E60: 697774FF 000000C2
	v_cmp_lt_u32_e64 s[98:99], v187, v194                      // 000000007E68: D0C90062 000385BB
	s_nop 0                                                    // 000000007E70: BF800000
	v_cndmask_b32_e64 v42, v197, v42, s[98:99]                 // 000000007E74: D100002A 018A55C5
	v_add_u32_e32 v187, 0xc3, v186                             // 000000007E7C: 697774FF 000000C3
	v_cmp_lt_u32_e64 s[98:99], v187, v194                      // 000000007E84: D0C90062 000385BB
	s_nop 0                                                    // 000000007E8C: BF800000
	v_cndmask_b32_e64 v43, v197, v43, s[98:99]                 // 000000007E90: D100002B 018A57C5
	v_add_u32_e32 v187, 0, v186                                // 000000007E98: 69777480
	v_cmp_lt_u32_e64 s[98:99], v187, v195                      // 000000007E9C: D0C90062 000387BB
	s_nop 0                                                    // 000000007EA4: BF800000
	v_cndmask_b32_e64 v44, v197, v44, s[98:99]                 // 000000007EA8: D100002C 018A59C5
	v_add_u32_e32 v187, 1, v186                                // 000000007EB0: 69777481
	v_cmp_lt_u32_e64 s[98:99], v187, v195                      // 000000007EB4: D0C90062 000387BB
	s_nop 0                                                    // 000000007EBC: BF800000
	v_cndmask_b32_e64 v45, v197, v45, s[98:99]                 // 000000007EC0: D100002D 018A5BC5
	v_add_u32_e32 v187, 2, v186                                // 000000007EC8: 69777482
	v_cmp_lt_u32_e64 s[98:99], v187, v195                      // 000000007ECC: D0C90062 000387BB
	s_nop 0                                                    // 000000007ED4: BF800000
	v_cndmask_b32_e64 v46, v197, v46, s[98:99]                 // 000000007ED8: D100002E 018A5DC5
	v_add_u32_e32 v187, 3, v186                                // 000000007EE0: 69777483
	v_cmp_lt_u32_e64 s[98:99], v187, v195                      // 000000007EE4: D0C90062 000387BB
	s_nop 0                                                    // 000000007EEC: BF800000
	v_cndmask_b32_e64 v47, v197, v47, s[98:99]                 // 000000007EF0: D100002F 018A5FC5
	v_add_u32_e32 v187, 64, v186                               // 000000007EF8: 697774C0
	v_cmp_lt_u32_e64 s[98:99], v187, v195                      // 000000007EFC: D0C90062 000387BB
	s_nop 0                                                    // 000000007F04: BF800000
	v_cndmask_b32_e64 v48, v197, v48, s[98:99]                 // 000000007F08: D1000030 018A61C5
	v_add_u32_e32 v187, 0x41, v186                             // 000000007F10: 697774FF 00000041
	v_cmp_lt_u32_e64 s[98:99], v187, v195                      // 000000007F18: D0C90062 000387BB
	s_nop 0                                                    // 000000007F20: BF800000
	v_cndmask_b32_e64 v49, v197, v49, s[98:99]                 // 000000007F24: D1000031 018A63C5
	v_add_u32_e32 v187, 0x42, v186                             // 000000007F2C: 697774FF 00000042
	v_cmp_lt_u32_e64 s[98:99], v187, v195                      // 000000007F34: D0C90062 000387BB
	s_nop 0                                                    // 000000007F3C: BF800000
	v_cndmask_b32_e64 v50, v197, v50, s[98:99]                 // 000000007F40: D1000032 018A65C5
	v_add_u32_e32 v187, 0x43, v186                             // 000000007F48: 697774FF 00000043
	v_cmp_lt_u32_e64 s[98:99], v187, v195                      // 000000007F50: D0C90062 000387BB
	s_nop 0                                                    // 000000007F58: BF800000
	v_cndmask_b32_e64 v51, v197, v51, s[98:99]                 // 000000007F5C: D1000033 018A67C5
	v_add_u32_e32 v187, 0x80, v186                             // 000000007F64: 697774FF 00000080
	v_cmp_lt_u32_e64 s[98:99], v187, v195                      // 000000007F6C: D0C90062 000387BB
	s_nop 0                                                    // 000000007F74: BF800000
	v_cndmask_b32_e64 v52, v197, v52, s[98:99]                 // 000000007F78: D1000034 018A69C5
	v_add_u32_e32 v187, 0x81, v186                             // 000000007F80: 697774FF 00000081
	v_cmp_lt_u32_e64 s[98:99], v187, v195                      // 000000007F88: D0C90062 000387BB
	s_nop 0                                                    // 000000007F90: BF800000
	v_cndmask_b32_e64 v53, v197, v53, s[98:99]                 // 000000007F94: D1000035 018A6BC5
	v_add_u32_e32 v187, 0x82, v186                             // 000000007F9C: 697774FF 00000082
	v_cmp_lt_u32_e64 s[98:99], v187, v195                      // 000000007FA4: D0C90062 000387BB
	s_nop 0                                                    // 000000007FAC: BF800000
	v_cndmask_b32_e64 v54, v197, v54, s[98:99]                 // 000000007FB0: D1000036 018A6DC5
	v_add_u32_e32 v187, 0x83, v186                             // 000000007FB8: 697774FF 00000083
	v_cmp_lt_u32_e64 s[98:99], v187, v195                      // 000000007FC0: D0C90062 000387BB
	s_nop 0                                                    // 000000007FC8: BF800000
	v_cndmask_b32_e64 v55, v197, v55, s[98:99]                 // 000000007FCC: D1000037 018A6FC5
	v_add_u32_e32 v187, 0xc0, v186                             // 000000007FD4: 697774FF 000000C0
	v_cmp_lt_u32_e64 s[98:99], v187, v195                      // 000000007FDC: D0C90062 000387BB
	s_nop 0                                                    // 000000007FE4: BF800000
	v_cndmask_b32_e64 v56, v197, v56, s[98:99]                 // 000000007FE8: D1000038 018A71C5
	v_add_u32_e32 v187, 0xc1, v186                             // 000000007FF0: 697774FF 000000C1
	v_cmp_lt_u32_e64 s[98:99], v187, v195                      // 000000007FF8: D0C90062 000387BB
	s_nop 0                                                    // 000000008000: BF800000
	v_cndmask_b32_e64 v57, v197, v57, s[98:99]                 // 000000008004: D1000039 018A73C5
	v_add_u32_e32 v187, 0xc2, v186                             // 00000000800C: 697774FF 000000C2
	v_cmp_lt_u32_e64 s[98:99], v187, v195                      // 000000008014: D0C90062 000387BB
	s_nop 0                                                    // 00000000801C: BF800000
	v_cndmask_b32_e64 v58, v197, v58, s[98:99]                 // 000000008020: D100003A 018A75C5
	v_add_u32_e32 v187, 0xc3, v186                             // 000000008028: 697774FF 000000C3
	v_cmp_lt_u32_e64 s[98:99], v187, v195                      // 000000008030: D0C90062 000387BB
	s_nop 0                                                    // 000000008038: BF800000
	v_cndmask_b32_e64 v59, v197, v59, s[98:99]                 // 00000000803C: D100003B 018A77C5
	v_mov_b32_e32 v150, v28                                    // 000000008044: 7F2C031C
	v_max3_f32 v150, v28, v29, v150                            // 000000008048: D1D30096 065A3B1C
	v_max3_f32 v150, v30, v31, v150                            // 000000008050: D1D30096 065A3F1E
	v_max3_f32 v150, v32, v33, v150                            // 000000008058: D1D30096 065A4320
	v_max3_f32 v150, v34, v35, v150                            // 000000008060: D1D30096 065A4722
	v_max3_f32 v150, v36, v37, v150                            // 000000008068: D1D30096 065A4B24
	v_max3_f32 v150, v38, v39, v150                            // 000000008070: D1D30096 065A4F26
	v_max3_f32 v150, v40, v41, v150                            // 000000008078: D1D30096 065A5328
	v_max3_f32 v150, v42, v43, v150                            // 000000008080: D1D30096 065A572A
	v_mov_b32_e32 v151, v44                                    // 000000008088: 7F2E032C
	v_max3_f32 v151, v44, v45, v151                            // 00000000808C: D1D30097 065E5B2C
	v_max3_f32 v151, v46, v47, v151                            // 000000008094: D1D30097 065E5F2E
	v_max3_f32 v151, v48, v49, v151                            // 00000000809C: D1D30097 065E6330
	v_max3_f32 v151, v50, v51, v151                            // 0000000080A4: D1D30097 065E6732
	v_max3_f32 v151, v52, v53, v151                            // 0000000080AC: D1D30097 065E6B34
	v_max3_f32 v151, v54, v55, v151                            // 0000000080B4: D1D30097 065E6F36
	v_max3_f32 v151, v56, v57, v151                            // 0000000080BC: D1D30097 065E7338
	v_max3_f32 v151, v58, v59, v151                            // 0000000080C4: D1D30097 065E773A
	ds_write_b64 v220, v[150:151]                              // 0000000080CC: D89A0000 000096DC
	v_pk_mul_f32 v[108:109], v[142:143], v[108:109]            // 0000000080D4: D3B1406C 1802D98E
	v_pk_mul_f32 v[110:111], v[142:143], v[110:111]            // 0000000080DC: D3B1406E 1802DD8E
	v_pk_mul_f32 v[112:113], v[142:143], v[112:113]            // 0000000080E4: D3B14070 1802E18E
	v_pk_mul_f32 v[114:115], v[142:143], v[114:115]            // 0000000080EC: D3B14072 1802E58E
	v_pk_mul_f32 v[116:117], v[144:145], v[116:117]            // 0000000080F4: D3B14074 1802E990
	v_pk_mul_f32 v[118:119], v[144:145], v[118:119]            // 0000000080FC: D3B14076 1802ED90
	v_pk_mul_f32 v[120:121], v[144:145], v[120:121]            // 000000008104: D3B14078 1802F190
	v_pk_mul_f32 v[122:123], v[144:145], v[122:123]            // 00000000810C: D3B1407A 1802F590
	s_waitcnt lgkmcnt(0)                                       // 000000008114: BF8CC07F
	s_barrier                                                  // 000000008118: BF8A0000
	ds_read_b64 v[154:155], v221                               // 00000000811C: D8EC0000 9A0000DD
	ds_read_b64 v[156:157], v221 offset:128                    // 000000008124: D8EC0080 9C0000DD
	ds_read_b64 v[158:159], v221 offset:256                    // 00000000812C: D8EC0100 9E0000DD
	ds_read_b64 v[160:161], v221 offset:384                    // 000000008134: D8EC0180 A00000DD
	ds_read_b64 v[162:163], v221 offset:512                    // 00000000813C: D8EC0200 A20000DD
	ds_read_b64 v[164:165], v221 offset:640                    // 000000008144: D8EC0280 A40000DD
	ds_read_b64 v[166:167], v221 offset:768                    // 00000000814C: D8EC0300 A60000DD
	ds_read_b64 v[168:169], v221 offset:896                    // 000000008154: D8EC0380 A80000DD
	ds_read_b64 v[170:171], v221 offset:1024                   // 00000000815C: D8EC0400 AA0000DD
	ds_read_b64 v[172:173], v221 offset:1152                   // 000000008164: D8EC0480 AC0000DD
	ds_read_b64 v[174:175], v221 offset:1280                   // 00000000816C: D8EC0500 AE0000DD
	ds_read_b64 v[176:177], v221 offset:1408                   // 000000008174: D8EC0580 B00000DD
	ds_read_b64 v[178:179], v221 offset:1536                   // 00000000817C: D8EC0600 B20000DD
	ds_read_b64 v[180:181], v221 offset:1664                   // 000000008184: D8EC0680 B40000DD
	ds_read_b64 v[182:183], v221 offset:1792                   // 00000000818C: D8EC0700 B60000DD
	ds_read_b64 v[184:185], v221 offset:1920                   // 000000008194: D8EC0780 B80000DD
	v_pk_mul_f32 v[92:93], v[132:133], v[92:93]                // 00000000819C: D3B1405C 1802B984
	v_pk_mul_f32 v[94:95], v[132:133], v[94:95]                // 0000000081A4: D3B1405E 1802BD84
	v_pk_mul_f32 v[96:97], v[132:133], v[96:97]                // 0000000081AC: D3B14060 1802C184
	v_pk_mul_f32 v[98:99], v[132:133], v[98:99]                // 0000000081B4: D3B14062 1802C584
	v_pk_mul_f32 v[100:101], v[134:135], v[100:101]            // 0000000081BC: D3B14064 1802C986
	v_pk_mul_f32 v[102:103], v[134:135], v[102:103]            // 0000000081C4: D3B14066 1802CD86
	v_pk_mul_f32 v[104:105], v[134:135], v[104:105]            // 0000000081CC: D3B14068 1802D186
	v_pk_mul_f32 v[106:107], v[134:135], v[106:107]            // 0000000081D4: D3B1406A 1802D586
	s_waitcnt lgkmcnt(0)                                       // 0000000081DC: BF8CC07F
	v_max3_f32 v150, v154, v156, v150                          // 0000000081E0: D1D30096 065B399A
	v_max3_f32 v151, v155, v157, v151                          // 0000000081E8: D1D30097 065F3B9B
	v_max3_f32 v150, v158, v160, v150                          // 0000000081F0: D1D30096 065B419E
	v_max3_f32 v151, v159, v161, v151                          // 0000000081F8: D1D30097 065F439F
	v_max3_f32 v150, v162, v164, v150                          // 000000008200: D1D30096 065B49A2
	v_max3_f32 v151, v163, v165, v151                          // 000000008208: D1D30097 065F4BA3
	v_max3_f32 v150, v166, v168, v150                          // 000000008210: D1D30096 065B51A6
	v_max3_f32 v151, v167, v169, v151                          // 000000008218: D1D30097 065F53A7
	v_max3_f32 v150, v170, v172, v150                          // 000000008220: D1D30096 065B59AA
	v_max3_f32 v151, v171, v173, v151                          // 000000008228: D1D30097 065F5BAB
	v_max3_f32 v150, v174, v176, v150                          // 000000008230: D1D30096 065B61AE
	v_max3_f32 v151, v175, v177, v151                          // 000000008238: D1D30097 065F63AF
	v_max3_f32 v150, v178, v180, v150                          // 000000008240: D1D30096 065B69B2
	v_max3_f32 v151, v179, v181, v151                          // 000000008248: D1D30097 065F6BB3
	v_max3_f32 v150, v182, v184, v150                          // 000000008250: D1D30096 065B71B6
	v_max3_f32 v151, v183, v185, v151                          // 000000008258: D1D30097 065F73B7
	v_max_f32_e32 v140, v150, v138                             // 000000008260: 17191596
	v_mul_f32_e64 v186, -s46, v140                             // 000000008264: D10500BA 2003182E
	v_mov_b32_e32 v187, v186                                   // 00000000826C: 7F7603BA
	v_pk_fma_f32 v[28:29], v[28:29], s[46:47], v[186:187]      // 000000008270: D3B0401C 1EE85D1C
	v_pk_fma_f32 v[30:31], v[30:31], s[46:47], v[186:187]      // 000000008278: D3B0401E 1EE85D1E
	v_exp_f32_e32 v28, v28                                     // 000000008280: 7E38411C
	v_exp_f32_e32 v29, v29                                     // 000000008284: 7E3A411D
	v_exp_f32_e32 v30, v30                                     // 000000008288: 7E3C411E
	v_exp_f32_e32 v31, v31                                     // 00000000828C: 7E3E411F
	v_pk_fma_f32 v[32:33], v[32:33], s[46:47], v[186:187]      // 000000008290: D3B04020 1EE85D20
	v_pk_fma_f32 v[34:35], v[34:35], s[46:47], v[186:187]      // 000000008298: D3B04022 1EE85D22
	v_exp_f32_e32 v32, v32                                     // 0000000082A0: 7E404120
	v_exp_f32_e32 v33, v33                                     // 0000000082A4: 7E424121
	v_exp_f32_e32 v34, v34                                     // 0000000082A8: 7E444122
	v_exp_f32_e32 v35, v35                                     // 0000000082AC: 7E464123
	v_pk_fma_f32 v[36:37], v[36:37], s[46:47], v[186:187]      // 0000000082B0: D3B04024 1EE85D24
	v_pk_fma_f32 v[38:39], v[38:39], s[46:47], v[186:187]      // 0000000082B8: D3B04026 1EE85D26
	v_exp_f32_e32 v36, v36                                     // 0000000082C0: 7E484124
	v_exp_f32_e32 v37, v37                                     // 0000000082C4: 7E4A4125
	v_exp_f32_e32 v38, v38                                     // 0000000082C8: 7E4C4126
	v_exp_f32_e32 v39, v39                                     // 0000000082CC: 7E4E4127
	v_pk_fma_f32 v[40:41], v[40:41], s[46:47], v[186:187]      // 0000000082D0: D3B04028 1EE85D28
	v_pk_fma_f32 v[42:43], v[42:43], s[46:47], v[186:187]      // 0000000082D8: D3B0402A 1EE85D2A
	v_exp_f32_e32 v40, v40                                     // 0000000082E0: 7E504128
	v_exp_f32_e32 v41, v41                                     // 0000000082E4: 7E524129
	v_exp_f32_e32 v42, v42                                     // 0000000082E8: 7E54412A
	v_exp_f32_e32 v43, v43                                     // 0000000082EC: 7E56412B
	v_max_f32_e32 v141, v151, v139                             // 0000000082F0: 171B1797
	v_mul_f32_e64 v186, -s46, v141                             // 0000000082F4: D10500BA 20031A2E
	v_mov_b32_e32 v187, v186                                   // 0000000082FC: 7F7603BA
	v_pk_fma_f32 v[44:45], v[44:45], s[46:47], v[186:187]      // 000000008300: D3B0402C 1EE85D2C
	v_pk_fma_f32 v[46:47], v[46:47], s[46:47], v[186:187]      // 000000008308: D3B0402E 1EE85D2E
	v_exp_f32_e32 v44, v44                                     // 000000008310: 7E58412C
	v_exp_f32_e32 v45, v45                                     // 000000008314: 7E5A412D
	v_exp_f32_e32 v46, v46                                     // 000000008318: 7E5C412E
	v_exp_f32_e32 v47, v47                                     // 00000000831C: 7E5E412F
	v_pk_fma_f32 v[48:49], v[48:49], s[46:47], v[186:187]      // 000000008320: D3B04030 1EE85D30
	v_pk_fma_f32 v[50:51], v[50:51], s[46:47], v[186:187]      // 000000008328: D3B04032 1EE85D32
	v_exp_f32_e32 v48, v48                                     // 000000008330: 7E604130
	v_exp_f32_e32 v49, v49                                     // 000000008334: 7E624131
	v_exp_f32_e32 v50, v50                                     // 000000008338: 7E644132
	v_exp_f32_e32 v51, v51                                     // 00000000833C: 7E664133
	v_pk_fma_f32 v[52:53], v[52:53], s[46:47], v[186:187]      // 000000008340: D3B04034 1EE85D34
	v_pk_fma_f32 v[54:55], v[54:55], s[46:47], v[186:187]      // 000000008348: D3B04036 1EE85D36
	v_exp_f32_e32 v52, v52                                     // 000000008350: 7E684134
	v_exp_f32_e32 v53, v53                                     // 000000008354: 7E6A4135
	v_exp_f32_e32 v54, v54                                     // 000000008358: 7E6C4136
	v_exp_f32_e32 v55, v55                                     // 00000000835C: 7E6E4137
	v_pk_fma_f32 v[56:57], v[56:57], s[46:47], v[186:187]      // 000000008360: D3B04038 1EE85D38
	v_pk_fma_f32 v[58:59], v[58:59], s[46:47], v[186:187]      // 000000008368: D3B0403A 1EE85D3A
	v_exp_f32_e32 v56, v56                                     // 000000008370: 7E704138
	v_exp_f32_e32 v57, v57                                     // 000000008374: 7E724139
	v_exp_f32_e32 v58, v58                                     // 000000008378: 7E74413A
	v_exp_f32_e32 v59, v59                                     // 00000000837C: 7E76413B
	v_mul_f32_dpp v60, v131, v28 row_newbcast:0 row_mask:0xf bank_mask:0xf// 000000008380: 0A7838FA FF015083
	v_mul_f32_dpp v61, v131, v29 row_newbcast:1 row_mask:0xf bank_mask:0xf// 000000008388: 0A7A3AFA FF015183
	v_mul_f32_dpp v62, v131, v30 row_newbcast:2 row_mask:0xf bank_mask:0xf// 000000008390: 0A7C3CFA FF015283
	v_mul_f32_dpp v63, v131, v31 row_newbcast:3 row_mask:0xf bank_mask:0xf// 000000008398: 0A7E3EFA FF015383
	v_mul_f32_dpp v64, v131, v32 row_newbcast:4 row_mask:0xf bank_mask:0xf// 0000000083A0: 0A8040FA FF015483
	v_mul_f32_dpp v65, v131, v33 row_newbcast:5 row_mask:0xf bank_mask:0xf// 0000000083A8: 0A8242FA FF015583
	v_mul_f32_dpp v66, v131, v34 row_newbcast:6 row_mask:0xf bank_mask:0xf// 0000000083B0: 0A8444FA FF015683
	v_mul_f32_dpp v67, v131, v35 row_newbcast:7 row_mask:0xf bank_mask:0xf// 0000000083B8: 0A8646FA FF015783
	v_mul_f32_dpp v68, v131, v36 row_newbcast:8 row_mask:0xf bank_mask:0xf// 0000000083C0: 0A8848FA FF015883
	v_mul_f32_dpp v69, v131, v37 row_newbcast:9 row_mask:0xf bank_mask:0xf// 0000000083C8: 0A8A4AFA FF015983
	v_mul_f32_dpp v70, v131, v38 row_newbcast:10 row_mask:0xf bank_mask:0xf// 0000000083D0: 0A8C4CFA FF015A83
	v_mul_f32_dpp v71, v131, v39 row_newbcast:11 row_mask:0xf bank_mask:0xf// 0000000083D8: 0A8E4EFA FF015B83
	v_mul_f32_dpp v72, v131, v40 row_newbcast:12 row_mask:0xf bank_mask:0xf// 0000000083E0: 0A9050FA FF015C83
	v_mul_f32_dpp v73, v131, v41 row_newbcast:13 row_mask:0xf bank_mask:0xf// 0000000083E8: 0A9252FA FF015D83
	v_mul_f32_dpp v74, v131, v42 row_newbcast:14 row_mask:0xf bank_mask:0xf// 0000000083F0: 0A9454FA FF015E83
	v_mul_f32_dpp v75, v131, v43 row_newbcast:15 row_mask:0xf bank_mask:0xf// 0000000083F8: 0A9656FA FF015F83
	v_mul_f32_dpp v76, v131, v44 row_newbcast:0 row_mask:0xf bank_mask:0xf// 000000008400: 0A9858FA FF015083
	v_mul_f32_dpp v77, v131, v45 row_newbcast:1 row_mask:0xf bank_mask:0xf// 000000008408: 0A9A5AFA FF015183
	v_mul_f32_dpp v78, v131, v46 row_newbcast:2 row_mask:0xf bank_mask:0xf// 000000008410: 0A9C5CFA FF015283
	v_mul_f32_dpp v79, v131, v47 row_newbcast:3 row_mask:0xf bank_mask:0xf// 000000008418: 0A9E5EFA FF015383
	v_mul_f32_dpp v80, v131, v48 row_newbcast:4 row_mask:0xf bank_mask:0xf// 000000008420: 0AA060FA FF015483
	v_mul_f32_dpp v81, v131, v49 row_newbcast:5 row_mask:0xf bank_mask:0xf// 000000008428: 0AA262FA FF015583
	v_mul_f32_dpp v82, v131, v50 row_newbcast:6 row_mask:0xf bank_mask:0xf// 000000008430: 0AA464FA FF015683
	v_mul_f32_dpp v83, v131, v51 row_newbcast:7 row_mask:0xf bank_mask:0xf// 000000008438: 0AA666FA FF015783
	v_mul_f32_dpp v84, v131, v52 row_newbcast:8 row_mask:0xf bank_mask:0xf// 000000008440: 0AA868FA FF015883
	v_mul_f32_dpp v85, v131, v53 row_newbcast:9 row_mask:0xf bank_mask:0xf// 000000008448: 0AAA6AFA FF015983
	v_mul_f32_dpp v86, v131, v54 row_newbcast:10 row_mask:0xf bank_mask:0xf// 000000008450: 0AAC6CFA FF015A83
	v_mul_f32_dpp v87, v131, v55 row_newbcast:11 row_mask:0xf bank_mask:0xf// 000000008458: 0AAE6EFA FF015B83
	v_mul_f32_dpp v88, v131, v56 row_newbcast:12 row_mask:0xf bank_mask:0xf// 000000008460: 0AB070FA FF015C83
	v_mul_f32_dpp v89, v131, v57 row_newbcast:13 row_mask:0xf bank_mask:0xf// 000000008468: 0AB272FA FF015D83
	v_mul_f32_dpp v90, v131, v58 row_newbcast:14 row_mask:0xf bank_mask:0xf// 000000008470: 0AB474FA FF015E83
	v_mul_f32_dpp v91, v131, v59 row_newbcast:15 row_mask:0xf bank_mask:0xf// 000000008478: 0AB676FA FF015F83
	v_add_u32_e32 v186, s64, v196                              // 000000008480: 69758840
	v_add_u32_e32 v187, 0, v186                                // 000000008484: 69777480
	v_cmp_lt_u32_e32 vcc, v187, v194                           // 000000008488: 7D9385BB
	v_cndmask_b32_e32 v60, 0, v60, vcc                         // 00000000848C: 00787880
	v_cmp_lt_u32_e32 vcc, v187, v195                           // 000000008490: 7D9387BB
	v_cndmask_b32_e32 v76, 0, v76, vcc                         // 000000008494: 00989880
	v_add_u32_e32 v187, 1, v186                                // 000000008498: 69777481
	v_cmp_lt_u32_e32 vcc, v187, v194                           // 00000000849C: 7D9385BB
	v_cndmask_b32_e32 v61, 0, v61, vcc                         // 0000000084A0: 007A7A80
	v_cmp_lt_u32_e32 vcc, v187, v195                           // 0000000084A4: 7D9387BB
	v_cndmask_b32_e32 v77, 0, v77, vcc                         // 0000000084A8: 009A9A80
	v_add_u32_e32 v187, 2, v186                                // 0000000084AC: 69777482
	v_cmp_lt_u32_e32 vcc, v187, v194                           // 0000000084B0: 7D9385BB
	v_cndmask_b32_e32 v62, 0, v62, vcc                         // 0000000084B4: 007C7C80
	v_cmp_lt_u32_e32 vcc, v187, v195                           // 0000000084B8: 7D9387BB
	v_cndmask_b32_e32 v78, 0, v78, vcc                         // 0000000084BC: 009C9C80
	v_add_u32_e32 v187, 3, v186                                // 0000000084C0: 69777483
	v_cmp_lt_u32_e32 vcc, v187, v194                           // 0000000084C4: 7D9385BB
	v_cndmask_b32_e32 v63, 0, v63, vcc                         // 0000000084C8: 007E7E80
	v_cmp_lt_u32_e32 vcc, v187, v195                           // 0000000084CC: 7D9387BB
	v_cndmask_b32_e32 v79, 0, v79, vcc                         // 0000000084D0: 009E9E80
	v_add_u32_e32 v187, 64, v186                               // 0000000084D4: 697774C0
	v_cmp_lt_u32_e32 vcc, v187, v194                           // 0000000084D8: 7D9385BB
	v_cndmask_b32_e32 v64, 0, v64, vcc                         // 0000000084DC: 00808080
	v_cmp_lt_u32_e32 vcc, v187, v195                           // 0000000084E0: 7D9387BB
	v_cndmask_b32_e32 v80, 0, v80, vcc                         // 0000000084E4: 00A0A080
	v_add_u32_e32 v187, 0x41, v186                             // 0000000084E8: 697774FF 00000041
	v_cmp_lt_u32_e32 vcc, v187, v194                           // 0000000084F0: 7D9385BB
	v_cndmask_b32_e32 v65, 0, v65, vcc                         // 0000000084F4: 00828280
	v_cmp_lt_u32_e32 vcc, v187, v195                           // 0000000084F8: 7D9387BB
	v_cndmask_b32_e32 v81, 0, v81, vcc                         // 0000000084FC: 00A2A280
	v_add_u32_e32 v187, 0x42, v186                             // 000000008500: 697774FF 00000042
	v_cmp_lt_u32_e32 vcc, v187, v194                           // 000000008508: 7D9385BB
	v_cndmask_b32_e32 v66, 0, v66, vcc                         // 00000000850C: 00848480
	v_cmp_lt_u32_e32 vcc, v187, v195                           // 000000008510: 7D9387BB
	v_cndmask_b32_e32 v82, 0, v82, vcc                         // 000000008514: 00A4A480
	v_add_u32_e32 v187, 0x43, v186                             // 000000008518: 697774FF 00000043
	v_cmp_lt_u32_e32 vcc, v187, v194                           // 000000008520: 7D9385BB
	v_cndmask_b32_e32 v67, 0, v67, vcc                         // 000000008524: 00868680
	v_cmp_lt_u32_e32 vcc, v187, v195                           // 000000008528: 7D9387BB
	v_cndmask_b32_e32 v83, 0, v83, vcc                         // 00000000852C: 00A6A680
	v_add_u32_e32 v187, 0x80, v186                             // 000000008530: 697774FF 00000080
	v_cmp_lt_u32_e32 vcc, v187, v194                           // 000000008538: 7D9385BB
	v_cndmask_b32_e32 v68, 0, v68, vcc                         // 00000000853C: 00888880
	v_cmp_lt_u32_e32 vcc, v187, v195                           // 000000008540: 7D9387BB
	v_cndmask_b32_e32 v84, 0, v84, vcc                         // 000000008544: 00A8A880
	v_add_u32_e32 v187, 0x81, v186                             // 000000008548: 697774FF 00000081
	v_cmp_lt_u32_e32 vcc, v187, v194                           // 000000008550: 7D9385BB
	v_cndmask_b32_e32 v69, 0, v69, vcc                         // 000000008554: 008A8A80
	v_cmp_lt_u32_e32 vcc, v187, v195                           // 000000008558: 7D9387BB
	v_cndmask_b32_e32 v85, 0, v85, vcc                         // 00000000855C: 00AAAA80
	v_add_u32_e32 v187, 0x82, v186                             // 000000008560: 697774FF 00000082
	v_cmp_lt_u32_e32 vcc, v187, v194                           // 000000008568: 7D9385BB
	v_cndmask_b32_e32 v70, 0, v70, vcc                         // 00000000856C: 008C8C80
	v_cmp_lt_u32_e32 vcc, v187, v195                           // 000000008570: 7D9387BB
	v_cndmask_b32_e32 v86, 0, v86, vcc                         // 000000008574: 00ACAC80
	v_add_u32_e32 v187, 0x83, v186                             // 000000008578: 697774FF 00000083
	v_cmp_lt_u32_e32 vcc, v187, v194                           // 000000008580: 7D9385BB
	v_cndmask_b32_e32 v71, 0, v71, vcc                         // 000000008584: 008E8E80
	v_cmp_lt_u32_e32 vcc, v187, v195                           // 000000008588: 7D9387BB
	v_cndmask_b32_e32 v87, 0, v87, vcc                         // 00000000858C: 00AEAE80
	v_add_u32_e32 v187, 0xc0, v186                             // 000000008590: 697774FF 000000C0
	v_cmp_lt_u32_e32 vcc, v187, v194                           // 000000008598: 7D9385BB
	v_cndmask_b32_e32 v72, 0, v72, vcc                         // 00000000859C: 00909080
	v_cmp_lt_u32_e32 vcc, v187, v195                           // 0000000085A0: 7D9387BB
	v_cndmask_b32_e32 v88, 0, v88, vcc                         // 0000000085A4: 00B0B080
	v_add_u32_e32 v187, 0xc1, v186                             // 0000000085A8: 697774FF 000000C1
	v_cmp_lt_u32_e32 vcc, v187, v194                           // 0000000085B0: 7D9385BB
	v_cndmask_b32_e32 v73, 0, v73, vcc                         // 0000000085B4: 00929280
	v_cmp_lt_u32_e32 vcc, v187, v195                           // 0000000085B8: 7D9387BB
	v_cndmask_b32_e32 v89, 0, v89, vcc                         // 0000000085BC: 00B2B280
	v_add_u32_e32 v187, 0xc2, v186                             // 0000000085C0: 697774FF 000000C2
	v_cmp_lt_u32_e32 vcc, v187, v194                           // 0000000085C8: 7D9385BB
	v_cndmask_b32_e32 v74, 0, v74, vcc                         // 0000000085CC: 00949480
	v_cmp_lt_u32_e32 vcc, v187, v195                           // 0000000085D0: 7D9387BB
	v_cndmask_b32_e32 v90, 0, v90, vcc                         // 0000000085D4: 00B4B480
	v_add_u32_e32 v187, 0xc3, v186                             // 0000000085D8: 697774FF 000000C3
	v_cmp_lt_u32_e32 vcc, v187, v194                           // 0000000085E0: 7D9385BB
	v_cndmask_b32_e32 v75, 0, v75, vcc                         // 0000000085E4: 00969680
	v_cmp_lt_u32_e32 vcc, v187, v195                           // 0000000085E8: 7D9387BB
	v_cndmask_b32_e32 v91, 0, v91, vcc                         // 0000000085EC: 00B6B680
	buffer_load_dword v128, v208, s[20:23], 0 offen            // 0000000085F0: E0501000 800580D0
	v_sub_f32_e32 v142, v138, v140                             // 0000000085F8: 051D198A
	v_cmp_eq_u32_e64 s[98:99], v197, v138                      // 0000000085FC: D0CA0062 000315C5
	v_cndmask_b32_e64 v142, v142, 0, s[98:99]                  // 000000008604: D100008E 0189018E
	v_mov_b32_e32 v138, v140                                   // 00000000860C: 7F14038C
	v_mul_f32_e32 v142, s46, v142                              // 000000008610: 0B1D1C2E
	v_exp_f32_e32 v142, v142                                   // 000000008614: 7F1C418E
	v_sub_f32_e32 v144, v139, v141                             // 000000008618: 05211B8B
	v_cmp_eq_u32_e64 s[98:99], v197, v139                      // 00000000861C: D0CA0062 000317C5
	v_cndmask_b32_e64 v144, v144, 0, s[98:99]                  // 000000008624: D1000090 01890190
	v_mov_b32_e32 v139, v141                                   // 00000000862C: 7F16038D
	v_mul_f32_e32 v144, s46, v144                              // 000000008630: 0B21202E
	v_exp_f32_e32 v144, v144                                   // 000000008634: 7F204190
	v_mov_b32_e32 v143, v142                                   // 000000008638: 7F1E038E
	v_mov_b32_e32 v145, v144                                   // 00000000863C: 7F220390
	buffer_load_dword v130, v209, s[24:27], 0 offen            // 000000008640: E0501000 800682D1
	s_waitcnt lgkmcnt(0)                                       // 000000008648: BF8CC07F
	s_barrier                                                  // 00000000864C: BF8A0000
	v_mul_f32_e32 v146, v142, v146                             // 000000008650: 0B25258E
	v_mov_b32_e32 v147, 0                                      // 000000008654: 7F260280
	v_pk_add_f32 v[146:147], v[28:29], v[146:147]              // 000000008658: D3B24092 1803251C
	v_pk_add_f32 v[146:147], v[30:31], v[146:147]              // 000000008660: D3B24092 1803251E
	v_pk_add_f32 v[146:147], v[32:33], v[146:147]              // 000000008668: D3B24092 18032520
	v_pk_add_f32 v[146:147], v[34:35], v[146:147]              // 000000008670: D3B24092 18032522
	;; [unrolled: 1-line block ×5, first 2 shown]
	v_pk_add_f32 v[146:147], v[42:43], v[146:147]              // 000000008690: D3B24092 1803252A
	v_add_f32_e32 v146, v147, v146                             // 000000008698: 03252593
	v_mul_f32_e32 v148, v144, v148                             // 00000000869C: 0B292990
	v_mov_b32_e32 v149, 0                                      // 0000000086A0: 7F2A0280
	v_pk_add_f32 v[148:149], v[44:45], v[148:149]              // 0000000086A4: D3B24094 1803292C
	v_pk_add_f32 v[148:149], v[46:47], v[148:149]              // 0000000086AC: D3B24094 1803292E
	v_pk_add_f32 v[148:149], v[48:49], v[148:149]              // 0000000086B4: D3B24094 18032930
	v_pk_add_f32 v[148:149], v[50:51], v[148:149]              // 0000000086BC: D3B24094 18032932
	v_pk_add_f32 v[148:149], v[52:53], v[148:149]              // 0000000086C4: D3B24094 18032934
	v_pk_add_f32 v[148:149], v[54:55], v[148:149]              // 0000000086CC: D3B24094 18032936
	v_pk_add_f32 v[148:149], v[56:57], v[148:149]              // 0000000086D4: D3B24094 18032938
	v_pk_add_f32 v[148:149], v[58:59], v[148:149]              // 0000000086DC: D3B24094 1803293A
	v_add_f32_e32 v148, v149, v148                             // 0000000086E4: 03292995
	s_waitcnt lgkmcnt(0)                                       // 0000000086E8: BF8CC07F
	v_sub_f32_e32 v150, v150, v138                             // 0000000086EC: 052D1596
	v_sub_f32_e32 v151, v151, v139                             // 0000000086F0: 052F1797
	v_mul_f32_e32 v150, s46, v150                              // 0000000086F4: 0B2D2C2E
	v_mul_f32_e32 v151, s46, v151                              // 0000000086F8: 0B2F2E2E
	v_exp_f32_e32 v150, v150                                   // 0000000086FC: 7F2C4196
	v_exp_f32_e32 v151, v151                                   // 000000008700: 7F2E4197
	v_mul_f32_e32 v150, v131, v150                             // 000000008704: 0B2D2D83
	v_mul_f32_e32 v151, v131, v151                             // 000000008708: 0B2F2F83
	v_add_f32_e32 v150, 0x3089705f, v150                       // 00000000870C: 032D2CFF 3089705F
	v_add_f32_e32 v151, 0x3089705f, v151                       // 000000008714: 032F2EFF 3089705F
	v_rcp_f32_e32 v150, v150                                   // 00000000871C: 7F2C4596
	v_rcp_f32_e32 v151, v151                                   // 000000008720: 7F2E4597
	v_mul_f32_e32 v150, 0x43700000, v150                       // 000000008724: 0B2D2CFF 43700000
	v_mul_f32_e32 v151, 0x43700000, v151                       // 00000000872C: 0B2F2EFF 43700000
	v_mov_b32_e32 v152, v151                                   // 000000008734: 7F300397
	v_mov_b32_e32 v153, v151                                   // 000000008738: 7F320397
	v_mov_b32_e32 v151, v150                                   // 00000000873C: 7F2E0396
	v_pk_mul_f32 v[28:29], v[150:151], v[60:61]                // 000000008740: D3B1401C 18027996
	v_pk_mul_f32 v[30:31], v[150:151], v[62:63]                // 000000008748: D3B1401E 18027D96
	v_pk_mul_f32 v[32:33], v[150:151], v[64:65]                // 000000008750: D3B14020 18028196
	v_pk_mul_f32 v[34:35], v[150:151], v[66:67]                // 000000008758: D3B14022 18028596
	v_pk_mul_f32 v[36:37], v[150:151], v[68:69]                // 000000008760: D3B14024 18028996
	v_pk_mul_f32 v[38:39], v[150:151], v[70:71]                // 000000008768: D3B14026 18028D96
	v_pk_mul_f32 v[40:41], v[150:151], v[72:73]                // 000000008770: D3B14028 18029196
	v_pk_mul_f32 v[42:43], v[150:151], v[74:75]                // 000000008778: D3B1402A 18029596
	v_pk_mul_f32 v[44:45], v[152:153], v[76:77]                // 000000008780: D3B1402C 18029998
	v_pk_mul_f32 v[46:47], v[152:153], v[78:79]                // 000000008788: D3B1402E 18029D98
	v_pk_mul_f32 v[48:49], v[152:153], v[80:81]                // 000000008790: D3B14030 1802A198
	v_pk_mul_f32 v[50:51], v[152:153], v[82:83]                // 000000008798: D3B14032 1802A598
	v_pk_mul_f32 v[52:53], v[152:153], v[84:85]                // 0000000087A0: D3B14034 1802A998
	v_pk_mul_f32 v[54:55], v[152:153], v[86:87]                // 0000000087A8: D3B14036 1802AD98
	v_pk_mul_f32 v[56:57], v[152:153], v[88:89]                // 0000000087B0: D3B14038 1802B198
	v_pk_mul_f32 v[58:59], v[152:153], v[90:91]                // 0000000087B8: D3B1403A 1802B598
	v_cvt_pk_fp8_f32 v28, v28, v29                             // 0000000087C0: D2A2001C 00023B1C
	v_cvt_pk_fp8_f32 v28, v30, v31 op_sel:[0,0,1]              // 0000000087C8: D2A2401C 00023F1E
	v_cvt_pk_fp8_f32 v29, v32, v33                             // 0000000087D0: D2A2001D 00024320
	v_cvt_pk_fp8_f32 v29, v34, v35 op_sel:[0,0,1]              // 0000000087D8: D2A2401D 00024722
	v_cvt_pk_fp8_f32 v30, v36, v37                             // 0000000087E0: D2A2001E 00024B24
	v_cvt_pk_fp8_f32 v30, v38, v39 op_sel:[0,0,1]              // 0000000087E8: D2A2401E 00024F26
	v_cvt_pk_fp8_f32 v31, v40, v41                             // 0000000087F0: D2A2001F 00025328
	v_cvt_pk_fp8_f32 v31, v42, v43 op_sel:[0,0,1]              // 0000000087F8: D2A2401F 0002572A
	v_cvt_pk_fp8_f32 v32, v44, v45                             // 000000008800: D2A20020 00025B2C
	v_cvt_pk_fp8_f32 v32, v46, v47 op_sel:[0,0,1]              // 000000008808: D2A24020 00025F2E
	v_cvt_pk_fp8_f32 v33, v48, v49                             // 000000008810: D2A20021 00026330
	v_cvt_pk_fp8_f32 v33, v50, v51 op_sel:[0,0,1]              // 000000008818: D2A24021 00026732
	v_cvt_pk_fp8_f32 v34, v52, v53                             // 000000008820: D2A20022 00026B34
	v_cvt_pk_fp8_f32 v34, v54, v55 op_sel:[0,0,1]              // 000000008828: D2A24022 00026F36
	v_cvt_pk_fp8_f32 v35, v56, v57                             // 000000008830: D2A20023 00027338
	v_cvt_pk_fp8_f32 v35, v58, v59 op_sel:[0,0,1]              // 000000008838: D2A24023 0002773A
	ds_write_b32 v222, v28 offset:4608                         // 000000008840: D81A1200 00001CDE
	ds_write_b32 v222, v29 offset:5632                         // 000000008848: D81A1600 00001DDE
	ds_write_b32 v222, v30 offset:6656                         // 000000008850: D81A1A00 00001EDE
	ds_write_b32 v222, v31 offset:7680                         // 000000008858: D81A1E00 00001FDE
	ds_write_b32 v222, v32 offset:8704                         // 000000008860: D81A2200 000020DE
	ds_write_b32 v222, v33 offset:9728                         // 000000008868: D81A2600 000021DE
	ds_write_b32 v222, v34 offset:10752                        // 000000008870: D81A2A00 000022DE
	ds_write_b32 v222, v35 offset:11776                        // 000000008878: D81A2E00 000023DE
	v_rcp_f32_e32 v132, v150                                   // 000000008880: 7F084596
	v_rcp_f32_e32 v134, v152                                   // 000000008884: 7F0C4598
	v_mov_b32_e32 v133, v132                                   // 000000008888: 7F0A0384
	v_mov_b32_e32 v135, v134                                   // 00000000888C: 7F0E0386
	v_pk_add_f32 v[108:109], v[108:109], v[92:93]              // 000000008890: D3B2406C 1802B96C
	v_pk_add_f32 v[110:111], v[110:111], v[94:95]              // 000000008898: D3B2406E 1802BD6E
	v_pk_add_f32 v[112:113], v[112:113], v[96:97]              // 0000000088A0: D3B24070 1802C170
	v_pk_add_f32 v[114:115], v[114:115], v[98:99]              // 0000000088A8: D3B24072 1802C572
	v_pk_add_f32 v[116:117], v[116:117], v[100:101]            // 0000000088B0: D3B24074 1802C974
	v_pk_add_f32 v[118:119], v[118:119], v[102:103]            // 0000000088B8: D3B24076 1802CD76
	v_pk_add_f32 v[120:121], v[120:121], v[104:105]            // 0000000088C0: D3B24078 1802D178
	v_pk_add_f32 v[122:123], v[122:123], v[106:107]            // 0000000088C8: D3B2407A 1802D57A
	s_waitcnt lgkmcnt(0)                                       // 0000000088D0: BF8CC07F
	s_barrier                                                  // 0000000088D4: BF8A0000
	ds_read_b128 v[28:31], v223 offset:4608                    // 0000000088D8: D9FE1200 1C0000DF
	ds_read_b128 v[32:35], v223 offset:5632                    // 0000000088E0: D9FE1600 200000DF
	ds_read_b128 v[36:39], v223 offset:6656                    // 0000000088E8: D9FE1A00 240000DF
	ds_read_b128 v[40:43], v223 offset:7680                    // 0000000088F0: D9FE1E00 280000DF
	ds_read_b128 v[44:47], v223 offset:8704                    // 0000000088F8: D9FE2200 2C0000DF
	ds_read_b128 v[48:51], v223 offset:9728                    // 000000008900: D9FE2600 300000DF
	ds_read_b128 v[52:55], v223 offset:10752                   // 000000008908: D9FE2A00 340000DF
	ds_read_b128 v[56:59], v223 offset:11776                   // 000000008910: D9FE2E00 380000DF
	s_waitcnt vmcnt(10)                                        // 000000008918: BF8C0F7A
	v_lshrrev_b32_e32 v136, 4, v0                              // 00000000891C: 21100084
	v_lshlrev_b32_e32 v136, 4, v136                            // 000000008920: 25111084
	v_add_u32_e32 v186, s64, v136                              // 000000008924: 69751040
	v_add_u32_e32 v186, 4, v186                                // 000000008928: 69757484
	v_sub_i32 v186, v186, s62                                  // 00000000892C: D29D00BA 00007DBA
	s_mov_b32 s54, 0                                           // 000000008934: BEB60080
	v_add_i32 v187, s54, v186                                  // 000000008938: D29C00BB 00037436
	v_cmp_lt_i32_e64 vcc, v187, 4                              // 000000008940: D0C1006A 000109BB
	v_min_u32_e32 v187, 4, v187                                // 000000008948: 1D777684
	v_lshlrev_b32_e32 v187, 3, v187                            // 00000000894C: 25777683
	v_lshrrev_b32_e64 v188, v187, -1                           // 000000008950: D11000BC 000183BB
	v_accvgpr_read_b32 v189, a96                               // 000000008958: D3D840BD 18000160
	v_cndmask_b32_e32 v189, 0, v189, vcc                       // 000000008960: 017B7A80
	v_and_b32_e32 v189, v189, v188                             // 000000008964: 277B79BD
	v_accvgpr_write_b32 a96, v189                              // 000000008968: D3D94060 180001BD
	v_accvgpr_read_b32 v189, a112                              // 000000008970: D3D840BD 18000170
	v_cndmask_b32_e32 v189, 0, v189, vcc                       // 000000008978: 017B7A80
	v_and_b32_e32 v189, v189, v188                             // 00000000897C: 277B79BD
	v_accvgpr_write_b32 a112, v189                             // 000000008980: D3D94070 180001BD
	s_mov_b32 s54, 4                                           // 000000008988: BEB60084
	v_add_i32 v187, s54, v186                                  // 00000000898C: D29C00BB 00037436
	v_cmp_lt_i32_e64 vcc, v187, 4                              // 000000008994: D0C1006A 000109BB
	v_min_u32_e32 v187, 4, v187                                // 00000000899C: 1D777684
	v_lshlrev_b32_e32 v187, 3, v187                            // 0000000089A0: 25777683
	v_lshrrev_b32_e64 v188, v187, -1                           // 0000000089A4: D11000BC 000183BB
	v_accvgpr_read_b32 v189, a97                               // 0000000089AC: D3D840BD 18000161
	v_cndmask_b32_e32 v189, 0, v189, vcc                       // 0000000089B4: 017B7A80
	v_and_b32_e32 v189, v189, v188                             // 0000000089B8: 277B79BD
	v_accvgpr_write_b32 a97, v189                              // 0000000089BC: D3D94061 180001BD
	v_accvgpr_read_b32 v189, a113                              // 0000000089C4: D3D840BD 18000171
	v_cndmask_b32_e32 v189, 0, v189, vcc                       // 0000000089CC: 017B7A80
	v_and_b32_e32 v189, v189, v188                             // 0000000089D0: 277B79BD
	v_accvgpr_write_b32 a113, v189                             // 0000000089D4: D3D94071 180001BD
	s_mov_b32 s54, 8                                           // 0000000089DC: BEB60088
	v_add_i32 v187, s54, v186                                  // 0000000089E0: D29C00BB 00037436
	v_cmp_lt_i32_e64 vcc, v187, 4                              // 0000000089E8: D0C1006A 000109BB
	v_min_u32_e32 v187, 4, v187                                // 0000000089F0: 1D777684
	v_lshlrev_b32_e32 v187, 3, v187                            // 0000000089F4: 25777683
	v_lshrrev_b32_e64 v188, v187, -1                           // 0000000089F8: D11000BC 000183BB
	v_accvgpr_read_b32 v189, a98                               // 000000008A00: D3D840BD 18000162
	v_cndmask_b32_e32 v189, 0, v189, vcc                       // 000000008A08: 017B7A80
	v_and_b32_e32 v189, v189, v188                             // 000000008A0C: 277B79BD
	v_accvgpr_write_b32 a98, v189                              // 000000008A10: D3D94062 180001BD
	v_accvgpr_read_b32 v189, a114                              // 000000008A18: D3D840BD 18000172
	v_cndmask_b32_e32 v189, 0, v189, vcc                       // 000000008A20: 017B7A80
	v_and_b32_e32 v189, v189, v188                             // 000000008A24: 277B79BD
	v_accvgpr_write_b32 a114, v189                             // 000000008A28: D3D94072 180001BD
	s_mov_b32 s54, 12                                          // 000000008A30: BEB6008C
	v_add_i32 v187, s54, v186                                  // 000000008A34: D29C00BB 00037436
	v_cmp_lt_i32_e64 vcc, v187, 4                              // 000000008A3C: D0C1006A 000109BB
	v_min_u32_e32 v187, 4, v187                                // 000000008A44: 1D777684
	v_lshlrev_b32_e32 v187, 3, v187                            // 000000008A48: 25777683
	v_lshrrev_b32_e64 v188, v187, -1                           // 000000008A4C: D11000BC 000183BB
	v_accvgpr_read_b32 v189, a99                               // 000000008A54: D3D840BD 18000163
	v_cndmask_b32_e32 v189, 0, v189, vcc                       // 000000008A5C: 017B7A80
	v_and_b32_e32 v189, v189, v188                             // 000000008A60: 277B79BD
	v_accvgpr_write_b32 a99, v189                              // 000000008A64: D3D94063 180001BD
	v_accvgpr_read_b32 v189, a115                              // 000000008A6C: D3D840BD 18000173
	v_cndmask_b32_e32 v189, 0, v189, vcc                       // 000000008A74: 017B7A80
	v_and_b32_e32 v189, v189, v188                             // 000000008A78: 277B79BD
	v_accvgpr_write_b32 a115, v189                             // 000000008A7C: D3D94073 180001BD
	s_mov_b32 s54, 64                                          // 000000008A84: BEB600C0
	v_add_i32 v187, s54, v186                                  // 000000008A88: D29C00BB 00037436
	v_cmp_lt_i32_e64 vcc, v187, 4                              // 000000008A90: D0C1006A 000109BB
	v_min_u32_e32 v187, 4, v187                                // 000000008A98: 1D777684
	v_lshlrev_b32_e32 v187, 3, v187                            // 000000008A9C: 25777683
	v_lshrrev_b32_e64 v188, v187, -1                           // 000000008AA0: D11000BC 000183BB
	v_accvgpr_read_b32 v189, a100                              // 000000008AA8: D3D840BD 18000164
	v_cndmask_b32_e32 v189, 0, v189, vcc                       // 000000008AB0: 017B7A80
	v_and_b32_e32 v189, v189, v188                             // 000000008AB4: 277B79BD
	v_accvgpr_write_b32 a100, v189                             // 000000008AB8: D3D94064 180001BD
	v_accvgpr_read_b32 v189, a116                              // 000000008AC0: D3D840BD 18000174
	v_cndmask_b32_e32 v189, 0, v189, vcc                       // 000000008AC8: 017B7A80
	v_and_b32_e32 v189, v189, v188                             // 000000008ACC: 277B79BD
	v_accvgpr_write_b32 a116, v189                             // 000000008AD0: D3D94074 180001BD
	s_mov_b32 s54, 0x44                                        // 000000008AD8: BEB600FF 00000044
	v_add_i32 v187, s54, v186                                  // 000000008AE0: D29C00BB 00037436
	v_cmp_lt_i32_e64 vcc, v187, 4                              // 000000008AE8: D0C1006A 000109BB
	v_min_u32_e32 v187, 4, v187                                // 000000008AF0: 1D777684
	v_lshlrev_b32_e32 v187, 3, v187                            // 000000008AF4: 25777683
	v_lshrrev_b32_e64 v188, v187, -1                           // 000000008AF8: D11000BC 000183BB
	v_accvgpr_read_b32 v189, a101                              // 000000008B00: D3D840BD 18000165
	v_cndmask_b32_e32 v189, 0, v189, vcc                       // 000000008B08: 017B7A80
	v_and_b32_e32 v189, v189, v188                             // 000000008B0C: 277B79BD
	v_accvgpr_write_b32 a101, v189                             // 000000008B10: D3D94065 180001BD
	v_accvgpr_read_b32 v189, a117                              // 000000008B18: D3D840BD 18000175
	v_cndmask_b32_e32 v189, 0, v189, vcc                       // 000000008B20: 017B7A80
	v_and_b32_e32 v189, v189, v188                             // 000000008B24: 277B79BD
	v_accvgpr_write_b32 a117, v189                             // 000000008B28: D3D94075 180001BD
	s_mov_b32 s54, 0x48                                        // 000000008B30: BEB600FF 00000048
	v_add_i32 v187, s54, v186                                  // 000000008B38: D29C00BB 00037436
	v_cmp_lt_i32_e64 vcc, v187, 4                              // 000000008B40: D0C1006A 000109BB
	v_min_u32_e32 v187, 4, v187                                // 000000008B48: 1D777684
	v_lshlrev_b32_e32 v187, 3, v187                            // 000000008B4C: 25777683
	v_lshrrev_b32_e64 v188, v187, -1                           // 000000008B50: D11000BC 000183BB
	v_accvgpr_read_b32 v189, a102                              // 000000008B58: D3D840BD 18000166
	v_cndmask_b32_e32 v189, 0, v189, vcc                       // 000000008B60: 017B7A80
	v_and_b32_e32 v189, v189, v188                             // 000000008B64: 277B79BD
	v_accvgpr_write_b32 a102, v189                             // 000000008B68: D3D94066 180001BD
	v_accvgpr_read_b32 v189, a118                              // 000000008B70: D3D840BD 18000176
	v_cndmask_b32_e32 v189, 0, v189, vcc                       // 000000008B78: 017B7A80
	v_and_b32_e32 v189, v189, v188                             // 000000008B7C: 277B79BD
	v_accvgpr_write_b32 a118, v189                             // 000000008B80: D3D94076 180001BD
	s_mov_b32 s54, 0x4c                                        // 000000008B88: BEB600FF 0000004C
	v_add_i32 v187, s54, v186                                  // 000000008B90: D29C00BB 00037436
	v_cmp_lt_i32_e64 vcc, v187, 4                              // 000000008B98: D0C1006A 000109BB
	v_min_u32_e32 v187, 4, v187                                // 000000008BA0: 1D777684
	v_lshlrev_b32_e32 v187, 3, v187                            // 000000008BA4: 25777683
	v_lshrrev_b32_e64 v188, v187, -1                           // 000000008BA8: D11000BC 000183BB
	v_accvgpr_read_b32 v189, a103                              // 000000008BB0: D3D840BD 18000167
	v_cndmask_b32_e32 v189, 0, v189, vcc                       // 000000008BB8: 017B7A80
	v_and_b32_e32 v189, v189, v188                             // 000000008BBC: 277B79BD
	v_accvgpr_write_b32 a103, v189                             // 000000008BC0: D3D94067 180001BD
	v_accvgpr_read_b32 v189, a119                              // 000000008BC8: D3D840BD 18000177
	v_cndmask_b32_e32 v189, 0, v189, vcc                       // 000000008BD0: 017B7A80
	v_and_b32_e32 v189, v189, v188                             // 000000008BD4: 277B79BD
	v_accvgpr_write_b32 a119, v189                             // 000000008BD8: D3D94077 180001BD
	s_mov_b32 s54, 0x80                                        // 000000008BE0: BEB600FF 00000080
	v_add_i32 v187, s54, v186                                  // 000000008BE8: D29C00BB 00037436
	v_cmp_lt_i32_e64 vcc, v187, 4                              // 000000008BF0: D0C1006A 000109BB
	v_min_u32_e32 v187, 4, v187                                // 000000008BF8: 1D777684
	v_lshlrev_b32_e32 v187, 3, v187                            // 000000008BFC: 25777683
	v_lshrrev_b32_e64 v188, v187, -1                           // 000000008C00: D11000BC 000183BB
	v_accvgpr_read_b32 v189, a104                              // 000000008C08: D3D840BD 18000168
	v_cndmask_b32_e32 v189, 0, v189, vcc                       // 000000008C10: 017B7A80
	v_and_b32_e32 v189, v189, v188                             // 000000008C14: 277B79BD
	v_accvgpr_write_b32 a104, v189                             // 000000008C18: D3D94068 180001BD
	v_accvgpr_read_b32 v189, a120                              // 000000008C20: D3D840BD 18000178
	v_cndmask_b32_e32 v189, 0, v189, vcc                       // 000000008C28: 017B7A80
	v_and_b32_e32 v189, v189, v188                             // 000000008C2C: 277B79BD
	v_accvgpr_write_b32 a120, v189                             // 000000008C30: D3D94078 180001BD
	s_mov_b32 s54, 0x84                                        // 000000008C38: BEB600FF 00000084
	v_add_i32 v187, s54, v186                                  // 000000008C40: D29C00BB 00037436
	v_cmp_lt_i32_e64 vcc, v187, 4                              // 000000008C48: D0C1006A 000109BB
	v_min_u32_e32 v187, 4, v187                                // 000000008C50: 1D777684
	v_lshlrev_b32_e32 v187, 3, v187                            // 000000008C54: 25777683
	v_lshrrev_b32_e64 v188, v187, -1                           // 000000008C58: D11000BC 000183BB
	v_accvgpr_read_b32 v189, a105                              // 000000008C60: D3D840BD 18000169
	v_cndmask_b32_e32 v189, 0, v189, vcc                       // 000000008C68: 017B7A80
	v_and_b32_e32 v189, v189, v188                             // 000000008C6C: 277B79BD
	v_accvgpr_write_b32 a105, v189                             // 000000008C70: D3D94069 180001BD
	v_accvgpr_read_b32 v189, a121                              // 000000008C78: D3D840BD 18000179
	v_cndmask_b32_e32 v189, 0, v189, vcc                       // 000000008C80: 017B7A80
	v_and_b32_e32 v189, v189, v188                             // 000000008C84: 277B79BD
	v_accvgpr_write_b32 a121, v189                             // 000000008C88: D3D94079 180001BD
	s_mov_b32 s54, 0x88                                        // 000000008C90: BEB600FF 00000088
	v_add_i32 v187, s54, v186                                  // 000000008C98: D29C00BB 00037436
	v_cmp_lt_i32_e64 vcc, v187, 4                              // 000000008CA0: D0C1006A 000109BB
	v_min_u32_e32 v187, 4, v187                                // 000000008CA8: 1D777684
	v_lshlrev_b32_e32 v187, 3, v187                            // 000000008CAC: 25777683
	v_lshrrev_b32_e64 v188, v187, -1                           // 000000008CB0: D11000BC 000183BB
	v_accvgpr_read_b32 v189, a106                              // 000000008CB8: D3D840BD 1800016A
	v_cndmask_b32_e32 v189, 0, v189, vcc                       // 000000008CC0: 017B7A80
	v_and_b32_e32 v189, v189, v188                             // 000000008CC4: 277B79BD
	v_accvgpr_write_b32 a106, v189                             // 000000008CC8: D3D9406A 180001BD
	v_accvgpr_read_b32 v189, a122                              // 000000008CD0: D3D840BD 1800017A
	v_cndmask_b32_e32 v189, 0, v189, vcc                       // 000000008CD8: 017B7A80
	v_and_b32_e32 v189, v189, v188                             // 000000008CDC: 277B79BD
	v_accvgpr_write_b32 a122, v189                             // 000000008CE0: D3D9407A 180001BD
	s_mov_b32 s54, 0x8c                                        // 000000008CE8: BEB600FF 0000008C
	v_add_i32 v187, s54, v186                                  // 000000008CF0: D29C00BB 00037436
	v_cmp_lt_i32_e64 vcc, v187, 4                              // 000000008CF8: D0C1006A 000109BB
	v_min_u32_e32 v187, 4, v187                                // 000000008D00: 1D777684
	v_lshlrev_b32_e32 v187, 3, v187                            // 000000008D04: 25777683
	v_lshrrev_b32_e64 v188, v187, -1                           // 000000008D08: D11000BC 000183BB
	v_accvgpr_read_b32 v189, a107                              // 000000008D10: D3D840BD 1800016B
	v_cndmask_b32_e32 v189, 0, v189, vcc                       // 000000008D18: 017B7A80
	v_and_b32_e32 v189, v189, v188                             // 000000008D1C: 277B79BD
	v_accvgpr_write_b32 a107, v189                             // 000000008D20: D3D9406B 180001BD
	v_accvgpr_read_b32 v189, a123                              // 000000008D28: D3D840BD 1800017B
	v_cndmask_b32_e32 v189, 0, v189, vcc                       // 000000008D30: 017B7A80
	v_and_b32_e32 v189, v189, v188                             // 000000008D34: 277B79BD
	v_accvgpr_write_b32 a123, v189                             // 000000008D38: D3D9407B 180001BD
	s_mov_b32 s54, 0xc0                                        // 000000008D40: BEB600FF 000000C0
	v_add_i32 v187, s54, v186                                  // 000000008D48: D29C00BB 00037436
	v_cmp_lt_i32_e64 vcc, v187, 4                              // 000000008D50: D0C1006A 000109BB
	v_min_u32_e32 v187, 4, v187                                // 000000008D58: 1D777684
	v_lshlrev_b32_e32 v187, 3, v187                            // 000000008D5C: 25777683
	v_lshrrev_b32_e64 v188, v187, -1                           // 000000008D60: D11000BC 000183BB
	v_accvgpr_read_b32 v189, a108                              // 000000008D68: D3D840BD 1800016C
	v_cndmask_b32_e32 v189, 0, v189, vcc                       // 000000008D70: 017B7A80
	v_and_b32_e32 v189, v189, v188                             // 000000008D74: 277B79BD
	v_accvgpr_write_b32 a108, v189                             // 000000008D78: D3D9406C 180001BD
	v_accvgpr_read_b32 v189, a124                              // 000000008D80: D3D840BD 1800017C
	v_cndmask_b32_e32 v189, 0, v189, vcc                       // 000000008D88: 017B7A80
	v_and_b32_e32 v189, v189, v188                             // 000000008D8C: 277B79BD
	v_accvgpr_write_b32 a124, v189                             // 000000008D90: D3D9407C 180001BD
	s_mov_b32 s54, 0xc4                                        // 000000008D98: BEB600FF 000000C4
	v_add_i32 v187, s54, v186                                  // 000000008DA0: D29C00BB 00037436
	v_cmp_lt_i32_e64 vcc, v187, 4                              // 000000008DA8: D0C1006A 000109BB
	v_min_u32_e32 v187, 4, v187                                // 000000008DB0: 1D777684
	v_lshlrev_b32_e32 v187, 3, v187                            // 000000008DB4: 25777683
	v_lshrrev_b32_e64 v188, v187, -1                           // 000000008DB8: D11000BC 000183BB
	v_accvgpr_read_b32 v189, a109                              // 000000008DC0: D3D840BD 1800016D
	v_cndmask_b32_e32 v189, 0, v189, vcc                       // 000000008DC8: 017B7A80
	v_and_b32_e32 v189, v189, v188                             // 000000008DCC: 277B79BD
	v_accvgpr_write_b32 a109, v189                             // 000000008DD0: D3D9406D 180001BD
	v_accvgpr_read_b32 v189, a125                              // 000000008DD8: D3D840BD 1800017D
	v_cndmask_b32_e32 v189, 0, v189, vcc                       // 000000008DE0: 017B7A80
	v_and_b32_e32 v189, v189, v188                             // 000000008DE4: 277B79BD
	v_accvgpr_write_b32 a125, v189                             // 000000008DE8: D3D9407D 180001BD
	s_mov_b32 s54, 0xc8                                        // 000000008DF0: BEB600FF 000000C8
	v_add_i32 v187, s54, v186                                  // 000000008DF8: D29C00BB 00037436
	v_cmp_lt_i32_e64 vcc, v187, 4                              // 000000008E00: D0C1006A 000109BB
	v_min_u32_e32 v187, 4, v187                                // 000000008E08: 1D777684
	v_lshlrev_b32_e32 v187, 3, v187                            // 000000008E0C: 25777683
	v_lshrrev_b32_e64 v188, v187, -1                           // 000000008E10: D11000BC 000183BB
	v_accvgpr_read_b32 v189, a110                              // 000000008E18: D3D840BD 1800016E
	v_cndmask_b32_e32 v189, 0, v189, vcc                       // 000000008E20: 017B7A80
	v_and_b32_e32 v189, v189, v188                             // 000000008E24: 277B79BD
	v_accvgpr_write_b32 a110, v189                             // 000000008E28: D3D9406E 180001BD
	v_accvgpr_read_b32 v189, a126                              // 000000008E30: D3D840BD 1800017E
	v_cndmask_b32_e32 v189, 0, v189, vcc                       // 000000008E38: 017B7A80
	v_and_b32_e32 v189, v189, v188                             // 000000008E3C: 277B79BD
	v_accvgpr_write_b32 a126, v189                             // 000000008E40: D3D9407E 180001BD
	s_mov_b32 s54, 0xcc                                        // 000000008E48: BEB600FF 000000CC
	v_add_i32 v187, s54, v186                                  // 000000008E50: D29C00BB 00037436
	v_cmp_lt_i32_e64 vcc, v187, 4                              // 000000008E58: D0C1006A 000109BB
	v_min_u32_e32 v187, 4, v187                                // 000000008E60: 1D777684
	v_lshlrev_b32_e32 v187, 3, v187                            // 000000008E64: 25777683
	v_lshrrev_b32_e64 v188, v187, -1                           // 000000008E68: D11000BC 000183BB
	v_accvgpr_read_b32 v189, a111                              // 000000008E70: D3D840BD 1800016F
	v_cndmask_b32_e32 v189, 0, v189, vcc                       // 000000008E78: 017B7A80
	v_and_b32_e32 v189, v189, v188                             // 000000008E7C: 277B79BD
	v_accvgpr_write_b32 a111, v189                             // 000000008E80: D3D9406F 180001BD
	v_accvgpr_read_b32 v189, a127                              // 000000008E88: D3D840BD 1800017F
	v_cndmask_b32_e32 v189, 0, v189, vcc                       // 000000008E90: 017B7A80
	v_and_b32_e32 v189, v189, v188                             // 000000008E94: 277B79BD
	v_accvgpr_write_b32 a127, v189                             // 000000008E98: D3D9407F 180001BD
	s_waitcnt lgkmcnt(7)                                       // 000000008EA0: BF8CC77F
	v_mfma_f32_16x16x32_fp8_fp8 v[92:95], a[96:97], v[28:29], 0// 000000008EA4: D3F3005C 0A023960
	v_mfma_f32_16x16x32_fp8_fp8 v[96:99], a[112:113], v[28:29], 0// 000000008EAC: D3F30060 0A023970
	v_mfma_f32_16x16x32_fp8_fp8 v[92:95], a[98:99], v[30:31], v[92:95]// 000000008EB4: D3F3005C 0D723D62
	buffer_load_dwordx4 a[64:67], v204, s[16:19], 0 offen      // 000000008EBC: E05C1000 808440CC
	v_mfma_f32_16x16x32_fp8_fp8 v[96:99], a[114:115], v[30:31], v[96:99]// 000000008EC4: D3F30060 0D823D72
	s_waitcnt lgkmcnt(6)                                       // 000000008ECC: BF8CC67F
	v_mfma_f32_16x16x32_fp8_fp8 v[92:95], a[100:101], v[32:33], v[92:95]// 000000008ED0: D3F3005C 0D724164
	v_mfma_f32_16x16x32_fp8_fp8 v[96:99], a[116:117], v[32:33], v[96:99]// 000000008ED8: D3F30060 0D824174
	v_mfma_f32_16x16x32_fp8_fp8 v[92:95], a[102:103], v[34:35], v[92:95]// 000000008EE0: D3F3005C 0D724566
	buffer_load_dwordx4 a[68:71], v205, s[16:19], 0 offen      // 000000008EE8: E05C1000 808444CD
	v_mfma_f32_16x16x32_fp8_fp8 v[96:99], a[118:119], v[34:35], v[96:99]// 000000008EF0: D3F30060 0D824576
	s_waitcnt lgkmcnt(5)                                       // 000000008EF8: BF8CC57F
	v_mfma_f32_16x16x32_fp8_fp8 v[92:95], a[104:105], v[36:37], v[92:95]// 000000008EFC: D3F3005C 0D724968
	v_mfma_f32_16x16x32_fp8_fp8 v[96:99], a[120:121], v[36:37], v[96:99]// 000000008F04: D3F30060 0D824978
	v_mfma_f32_16x16x32_fp8_fp8 v[92:95], a[106:107], v[38:39], v[92:95]// 000000008F0C: D3F3005C 0D724D6A
	buffer_load_dwordx4 a[72:75], v206, s[16:19], 0 offen      // 000000008F14: E05C1000 808448CE
	v_mfma_f32_16x16x32_fp8_fp8 v[96:99], a[122:123], v[38:39], v[96:99]// 000000008F1C: D3F30060 0D824D7A
	s_waitcnt lgkmcnt(4)                                       // 000000008F24: BF8CC47F
	v_mfma_f32_16x16x32_fp8_fp8 v[92:95], a[108:109], v[40:41], v[92:95]// 000000008F28: D3F3005C 0D72516C
	v_mfma_f32_16x16x32_fp8_fp8 v[96:99], a[124:125], v[40:41], v[96:99]// 000000008F30: D3F30060 0D82517C
	v_mfma_f32_16x16x32_fp8_fp8 v[92:95], a[110:111], v[42:43], v[92:95]// 000000008F38: D3F3005C 0D72556E
	buffer_load_dwordx4 a[76:79], v207, s[16:19], 0 offen      // 000000008F40: E05C1000 80844CCF
	v_mfma_f32_16x16x32_fp8_fp8 v[96:99], a[126:127], v[42:43], v[96:99]// 000000008F48: D3F30060 0D82557E
	s_waitcnt lgkmcnt(3)                                       // 000000008F50: BF8CC37F
	v_mfma_f32_16x16x32_fp8_fp8 v[100:103], a[96:97], v[44:45], 0// 000000008F54: D3F30064 0A025960
	v_mfma_f32_16x16x32_fp8_fp8 v[104:107], a[112:113], v[44:45], 0// 000000008F5C: D3F30068 0A025970
	v_mfma_f32_16x16x32_fp8_fp8 v[100:103], a[98:99], v[46:47], v[100:103]// 000000008F64: D3F30064 0D925D62
	buffer_load_dwordx4 a[80:83], v204, s[16:19], 0 offen offset:1024// 000000008F6C: E05C1400 808450CC
	v_mfma_f32_16x16x32_fp8_fp8 v[104:107], a[114:115], v[46:47], v[104:107]// 000000008F74: D3F30068 0DA25D72
	s_waitcnt lgkmcnt(2)                                       // 000000008F7C: BF8CC27F
	v_mfma_f32_16x16x32_fp8_fp8 v[100:103], a[100:101], v[48:49], v[100:103]// 000000008F80: D3F30064 0D926164
	v_mfma_f32_16x16x32_fp8_fp8 v[104:107], a[116:117], v[48:49], v[104:107]// 000000008F88: D3F30068 0DA26174
	v_mfma_f32_16x16x32_fp8_fp8 v[100:103], a[102:103], v[50:51], v[100:103]// 000000008F90: D3F30064 0D926566
	buffer_load_dwordx4 a[84:87], v205, s[16:19], 0 offen offset:1024// 000000008F98: E05C1400 808454CD
	v_mfma_f32_16x16x32_fp8_fp8 v[104:107], a[118:119], v[50:51], v[104:107]// 000000008FA0: D3F30068 0DA26576
	s_waitcnt lgkmcnt(1)                                       // 000000008FA8: BF8CC17F
	v_mfma_f32_16x16x32_fp8_fp8 v[100:103], a[104:105], v[52:53], v[100:103]// 000000008FAC: D3F30064 0D926968
	v_mfma_f32_16x16x32_fp8_fp8 v[104:107], a[120:121], v[52:53], v[104:107]// 000000008FB4: D3F30068 0DA26978
	v_mfma_f32_16x16x32_fp8_fp8 v[100:103], a[106:107], v[54:55], v[100:103]// 000000008FBC: D3F30064 0D926D6A
	buffer_load_dwordx4 a[88:91], v206, s[16:19], 0 offen offset:1024// 000000008FC4: E05C1400 808458CE
	v_mfma_f32_16x16x32_fp8_fp8 v[104:107], a[122:123], v[54:55], v[104:107]// 000000008FCC: D3F30068 0DA26D7A
	s_waitcnt lgkmcnt(0)                                       // 000000008FD4: BF8CC07F
	v_mfma_f32_16x16x32_fp8_fp8 v[100:103], a[108:109], v[56:57], v[100:103]// 000000008FD8: D3F30064 0D92716C
	v_mfma_f32_16x16x32_fp8_fp8 v[104:107], a[124:125], v[56:57], v[104:107]// 000000008FE0: D3F30068 0DA2717C
	v_mfma_f32_16x16x32_fp8_fp8 v[100:103], a[110:111], v[58:59], v[100:103]// 000000008FE8: D3F30064 0D92756E
	buffer_load_dwordx4 a[92:95], v207, s[16:19], 0 offen offset:1024// 000000008FF0: E05C1400 80845CCF
	v_mfma_f32_16x16x32_fp8_fp8 v[104:107], a[126:127], v[58:59], v[104:107]// 000000008FF8: D3F30068 0DA2757E
	s_addk_i32 s64, 0x100                                      // 000000009000: B7400100
	s_branch label_0F5E                                        // 000000009004: BF82F4DC

0000000000009008 <label_1A82>:
	v_mov_b32_e32 v147, v148                                   // 000000009008: 7F260394
	ds_write_b64 v220, v[146:147]                              // 00000000900C: D89A0000 000092DC
	v_pk_mul_f32 v[108:109], v[142:143], v[108:109]            // 000000009014: D3B1406C 1802D98E
	v_pk_mul_f32 v[110:111], v[142:143], v[110:111]            // 00000000901C: D3B1406E 1802DD8E
	v_pk_mul_f32 v[112:113], v[142:143], v[112:113]            // 000000009024: D3B14070 1802E18E
	v_pk_mul_f32 v[114:115], v[142:143], v[114:115]            // 00000000902C: D3B14072 1802E58E
	v_pk_mul_f32 v[116:117], v[144:145], v[116:117]            // 000000009034: D3B14074 1802E990
	v_pk_mul_f32 v[118:119], v[144:145], v[118:119]            // 00000000903C: D3B14076 1802ED90
	v_pk_mul_f32 v[120:121], v[144:145], v[120:121]            // 000000009044: D3B14078 1802F190
	v_pk_mul_f32 v[122:123], v[144:145], v[122:123]            // 00000000904C: D3B1407A 1802F590
	s_waitcnt lgkmcnt(0)                                       // 000000009054: BF8CC07F
	s_barrier                                                  // 000000009058: BF8A0000
	ds_read_b64 v[154:155], v221                               // 00000000905C: D8EC0000 9A0000DD
	ds_read_b64 v[156:157], v221 offset:128                    // 000000009064: D8EC0080 9C0000DD
	ds_read_b64 v[158:159], v221 offset:256                    // 00000000906C: D8EC0100 9E0000DD
	ds_read_b64 v[160:161], v221 offset:384                    // 000000009074: D8EC0180 A00000DD
	ds_read_b64 v[162:163], v221 offset:512                    // 00000000907C: D8EC0200 A20000DD
	ds_read_b64 v[164:165], v221 offset:640                    // 000000009084: D8EC0280 A40000DD
	ds_read_b64 v[166:167], v221 offset:768                    // 00000000908C: D8EC0300 A60000DD
	ds_read_b64 v[168:169], v221 offset:896                    // 000000009094: D8EC0380 A80000DD
	ds_read_b64 v[170:171], v221 offset:1024                   // 00000000909C: D8EC0400 AA0000DD
	ds_read_b64 v[172:173], v221 offset:1152                   // 0000000090A4: D8EC0480 AC0000DD
	ds_read_b64 v[174:175], v221 offset:1280                   // 0000000090AC: D8EC0500 AE0000DD
	ds_read_b64 v[176:177], v221 offset:1408                   // 0000000090B4: D8EC0580 B00000DD
	ds_read_b64 v[178:179], v221 offset:1536                   // 0000000090BC: D8EC0600 B20000DD
	ds_read_b64 v[180:181], v221 offset:1664                   // 0000000090C4: D8EC0680 B40000DD
	ds_read_b64 v[182:183], v221 offset:1792                   // 0000000090CC: D8EC0700 B60000DD
	ds_read_b64 v[184:185], v221 offset:1920                   // 0000000090D4: D8EC0780 B80000DD
	v_pk_mul_f32 v[92:93], v[132:133], v[92:93]                // 0000000090DC: D3B1405C 1802B984
	v_pk_mul_f32 v[94:95], v[132:133], v[94:95]                // 0000000090E4: D3B1405E 1802BD84
	v_pk_mul_f32 v[96:97], v[132:133], v[96:97]                // 0000000090EC: D3B14060 1802C184
	v_pk_mul_f32 v[98:99], v[132:133], v[98:99]                // 0000000090F4: D3B14062 1802C584
	v_pk_mul_f32 v[100:101], v[134:135], v[100:101]            // 0000000090FC: D3B14064 1802C986
	v_pk_mul_f32 v[102:103], v[134:135], v[102:103]            // 000000009104: D3B14066 1802CD86
	v_pk_mul_f32 v[104:105], v[134:135], v[104:105]            // 00000000910C: D3B14068 1802D186
	v_pk_mul_f32 v[106:107], v[134:135], v[106:107]            // 000000009114: D3B1406A 1802D586
	v_pk_add_f32 v[108:109], v[108:109], v[92:93]              // 00000000911C: D3B2406C 1802B96C
	v_pk_add_f32 v[110:111], v[110:111], v[94:95]              // 000000009124: D3B2406E 1802BD6E
	v_pk_add_f32 v[112:113], v[112:113], v[96:97]              // 00000000912C: D3B24070 1802C170
	v_pk_add_f32 v[114:115], v[114:115], v[98:99]              // 000000009134: D3B24072 1802C572
	v_pk_add_f32 v[116:117], v[116:117], v[100:101]            // 00000000913C: D3B24074 1802C974
	v_pk_add_f32 v[118:119], v[118:119], v[102:103]            // 000000009144: D3B24076 1802CD76
	v_pk_add_f32 v[120:121], v[120:121], v[104:105]            // 00000000914C: D3B24078 1802D178
	v_pk_add_f32 v[122:123], v[122:123], v[106:107]            // 000000009154: D3B2407A 1802D57A
	s_waitcnt lgkmcnt(0)                                       // 00000000915C: BF8CC07F
	v_mov_b64_e32 v[146:147], 0                                // 000000009160: 7F247080
	v_pk_add_f32 v[146:147], v[154:155], v[146:147]            // 000000009164: D3B24092 1803259A
	v_pk_add_f32 v[146:147], v[156:157], v[146:147]            // 00000000916C: D3B24092 1803259C
	v_pk_add_f32 v[146:147], v[158:159], v[146:147]            // 000000009174: D3B24092 1803259E
	v_pk_add_f32 v[146:147], v[160:161], v[146:147]            // 00000000917C: D3B24092 180325A0
	v_pk_add_f32 v[146:147], v[162:163], v[146:147]            // 000000009184: D3B24092 180325A2
	v_pk_add_f32 v[146:147], v[164:165], v[146:147]            // 00000000918C: D3B24092 180325A4
	v_pk_add_f32 v[146:147], v[166:167], v[146:147]            // 000000009194: D3B24092 180325A6
	v_pk_add_f32 v[146:147], v[168:169], v[146:147]            // 00000000919C: D3B24092 180325A8
	v_pk_add_f32 v[146:147], v[170:171], v[146:147]            // 0000000091A4: D3B24092 180325AA
	v_pk_add_f32 v[146:147], v[172:173], v[146:147]            // 0000000091AC: D3B24092 180325AC
	v_pk_add_f32 v[146:147], v[174:175], v[146:147]            // 0000000091B4: D3B24092 180325AE
	v_pk_add_f32 v[146:147], v[176:177], v[146:147]            // 0000000091BC: D3B24092 180325B0
	v_pk_add_f32 v[146:147], v[178:179], v[146:147]            // 0000000091C4: D3B24092 180325B2
	v_pk_add_f32 v[146:147], v[180:181], v[146:147]            // 0000000091CC: D3B24092 180325B4
	v_pk_add_f32 v[146:147], v[182:183], v[146:147]            // 0000000091D4: D3B24092 180325B6
	v_pk_add_f32 v[146:147], v[184:185], v[146:147]            // 0000000091DC: D3B24092 180325B8
	v_rcp_f32_e32 v154, v146                                   // 0000000091E4: 7F344592
	v_cmp_eq_u32_e64 s[54:55], 0, v146                         // 0000000091E8: D0CA0036 00032480
	s_nop 0                                                    // 0000000091F0: BF800000
	v_cndmask_b32_e64 v154, v154, 0, s[54:55]                  // 0000000091F4: D100009A 00D9019A
	v_rcp_f32_e32 v155, v147                                   // 0000000091FC: 7F364593
	v_cmp_eq_u32_e64 s[54:55], 0, v147                         // 000000009200: D0CA0036 00032680
	s_nop 0                                                    // 000000009208: BF800000
	v_cndmask_b32_e64 v155, v155, 0, s[54:55]                  // 00000000920C: D100009B 00D9019B
	v_mov_b32_e32 v156, v155                                   // 000000009214: 7F38039B
	v_mov_b32_e32 v157, v155                                   // 000000009218: 7F3A039B
	v_mov_b32_e32 v155, v154                                   // 00000000921C: 7F36039A
	v_pk_mul_f32 v[108:109], v[154:155], v[108:109]            // 000000009220: D3B1406C 1802D99A
	v_pk_mul_f32 v[110:111], v[154:155], v[110:111]            // 000000009228: D3B1406E 1802DD9A
	v_pk_mul_f32 v[112:113], v[154:155], v[112:113]            // 000000009230: D3B14070 1802E19A
	v_pk_mul_f32 v[114:115], v[154:155], v[114:115]            // 000000009238: D3B14072 1802E59A
	v_pk_mul_f32 v[116:117], v[156:157], v[116:117]            // 000000009240: D3B14074 1802E99C
	v_pk_mul_f32 v[118:119], v[156:157], v[118:119]            // 000000009248: D3B14076 1802ED9C
	v_pk_mul_f32 v[120:121], v[156:157], v[120:121]            // 000000009250: D3B14078 1802F19C
	v_pk_mul_f32 v[122:123], v[156:157], v[122:123]            // 000000009258: D3B1407A 1802F59C
	s_cmp_eq_i32 s73, -1                                       // 000000009260: BF00C149
	s_cbranch_scc0 label_1B9F                                  // 000000009264: BF840085
	v_cmp_u_f32_e64 s[98:99], v108, v108                       // 000000009268: D0480062 0002D96C
	v_add3_u32 v190, v108, v193, 1                             // 000000009270: D1FF00BE 0207836C
	v_cndmask_b32_e64 v186, v190, v192, s[98:99]               // 000000009278: D10000BA 018B81BE
	v_cmp_u_f32_e64 s[98:99], v109, v109                       // 000000009280: D0480062 0002DB6D
	v_add3_u32 v190, v109, v193, 1                             // 000000009288: D1FF00BE 0207836D
	v_cndmask_b32_e64 v187, v190, v192, s[98:99]               // 000000009290: D10000BB 018B81BE
	v_perm_b32 v108, v187, v186, s56                           // 000000009298: D1ED006C 00E375BB
	v_cmp_u_f32_e64 s[98:99], v110, v110                       // 0000000092A0: D0480062 0002DD6E
	v_add3_u32 v190, v110, v193, 1                             // 0000000092A8: D1FF00BE 0207836E
	v_cndmask_b32_e64 v186, v190, v192, s[98:99]               // 0000000092B0: D10000BA 018B81BE
	v_cmp_u_f32_e64 s[98:99], v111, v111                       // 0000000092B8: D0480062 0002DF6F
	v_add3_u32 v190, v111, v193, 1                             // 0000000092C0: D1FF00BE 0207836F
	v_cndmask_b32_e64 v187, v190, v192, s[98:99]               // 0000000092C8: D10000BB 018B81BE
	v_perm_b32 v109, v187, v186, s56                           // 0000000092D0: D1ED006D 00E375BB
	v_cmp_u_f32_e64 s[98:99], v112, v112                       // 0000000092D8: D0480062 0002E170
	v_add3_u32 v190, v112, v193, 1                             // 0000000092E0: D1FF00BE 02078370
	v_cndmask_b32_e64 v186, v190, v192, s[98:99]               // 0000000092E8: D10000BA 018B81BE
	v_cmp_u_f32_e64 s[98:99], v113, v113                       // 0000000092F0: D0480062 0002E371
	v_add3_u32 v190, v113, v193, 1                             // 0000000092F8: D1FF00BE 02078371
	v_cndmask_b32_e64 v187, v190, v192, s[98:99]               // 000000009300: D10000BB 018B81BE
	v_perm_b32 v110, v187, v186, s56                           // 000000009308: D1ED006E 00E375BB
	v_cmp_u_f32_e64 s[98:99], v114, v114                       // 000000009310: D0480062 0002E572
	v_add3_u32 v190, v114, v193, 1                             // 000000009318: D1FF00BE 02078372
	v_cndmask_b32_e64 v186, v190, v192, s[98:99]               // 000000009320: D10000BA 018B81BE
	v_cmp_u_f32_e64 s[98:99], v115, v115                       // 000000009328: D0480062 0002E773
	v_add3_u32 v190, v115, v193, 1                             // 000000009330: D1FF00BE 02078373
	v_cndmask_b32_e64 v187, v190, v192, s[98:99]               // 000000009338: D10000BB 018B81BE
	v_perm_b32 v111, v187, v186, s56                           // 000000009340: D1ED006F 00E375BB
	v_cmp_u_f32_e64 s[98:99], v116, v116                       // 000000009348: D0480062 0002E974
	v_add3_u32 v190, v116, v193, 1                             // 000000009350: D1FF00BE 02078374
	v_cndmask_b32_e64 v186, v190, v192, s[98:99]               // 000000009358: D10000BA 018B81BE
	v_cmp_u_f32_e64 s[98:99], v117, v117                       // 000000009360: D0480062 0002EB75
	v_add3_u32 v190, v117, v193, 1                             // 000000009368: D1FF00BE 02078375
	v_cndmask_b32_e64 v187, v190, v192, s[98:99]               // 000000009370: D10000BB 018B81BE
	v_perm_b32 v112, v187, v186, s56                           // 000000009378: D1ED0070 00E375BB
	v_cmp_u_f32_e64 s[98:99], v118, v118                       // 000000009380: D0480062 0002ED76
	v_add3_u32 v190, v118, v193, 1                             // 000000009388: D1FF00BE 02078376
	v_cndmask_b32_e64 v186, v190, v192, s[98:99]               // 000000009390: D10000BA 018B81BE
	v_cmp_u_f32_e64 s[98:99], v119, v119                       // 000000009398: D0480062 0002EF77
	v_add3_u32 v190, v119, v193, 1                             // 0000000093A0: D1FF00BE 02078377
	v_cndmask_b32_e64 v187, v190, v192, s[98:99]               // 0000000093A8: D10000BB 018B81BE
	v_perm_b32 v113, v187, v186, s56                           // 0000000093B0: D1ED0071 00E375BB
	v_cmp_u_f32_e64 s[98:99], v120, v120                       // 0000000093B8: D0480062 0002F178
	v_add3_u32 v190, v120, v193, 1                             // 0000000093C0: D1FF00BE 02078378
	v_cndmask_b32_e64 v186, v190, v192, s[98:99]               // 0000000093C8: D10000BA 018B81BE
	v_cmp_u_f32_e64 s[98:99], v121, v121                       // 0000000093D0: D0480062 0002F379
	v_add3_u32 v190, v121, v193, 1                             // 0000000093D8: D1FF00BE 02078379
	v_cndmask_b32_e64 v187, v190, v192, s[98:99]               // 0000000093E0: D10000BB 018B81BE
	v_perm_b32 v114, v187, v186, s56                           // 0000000093E8: D1ED0072 00E375BB
	v_cmp_u_f32_e64 s[98:99], v122, v122                       // 0000000093F0: D0480062 0002F57A
	v_add3_u32 v190, v122, v193, 1                             // 0000000093F8: D1FF00BE 0207837A
	v_cndmask_b32_e64 v186, v190, v192, s[98:99]               // 000000009400: D10000BA 018B81BE
	v_cmp_u_f32_e64 s[98:99], v123, v123                       // 000000009408: D0480062 0002F77B
	v_add3_u32 v190, v123, v193, 1                             // 000000009410: D1FF00BE 0207837B
	v_cndmask_b32_e64 v187, v190, v192, s[98:99]               // 000000009418: D10000BB 018B81BE
	v_perm_b32 v115, v187, v186, s56                           // 000000009420: D1ED0073 00E375BB
	ds_write_b64 v218, v[108:109] offset:4608                  // 000000009428: D89A1200 00006CDA
	ds_write_b64 v218, v[110:111] offset:6912                  // 000000009430: D89A1B00 00006EDA
	ds_write_b64 v218, v[112:113] offset:9216                  // 000000009438: D89A2400 000070DA
	ds_write_b64 v218, v[114:115] offset:11520                 // 000000009440: D89A2D00 000072DA
	s_waitcnt lgkmcnt(0)                                       // 000000009448: BF8CC07F
	s_barrier                                                  // 00000000944C: BF8A0000
	ds_read_b128 v[108:111], v219 offset:4608                  // 000000009450: D9FE1200 6C0000DB
	ds_read_b128 v[112:115], v219 offset:9216                  // 000000009458: D9FE2400 700000DB
	s_waitcnt lgkmcnt(1)                                       // 000000009460: BF8CC17F
	buffer_store_dwordx4 v[108:111], v200, s[4:7], 0 offen     // 000000009464: E07C1000 80016CC8
	s_waitcnt lgkmcnt(0)                                       // 00000000946C: BF8CC07F
	buffer_store_dwordx4 v[112:115], v201, s[4:7], 0 offen     // 000000009470: E07C1000 800170C9
	s_branch label_1BBD                                        // 000000009478: BF82001E

000000000000947c <label_1B9F>:
	v_rcp_f32_e32 v189, 0x3fb8aa3b                             // 00000000947C: 7F7A44FF 3FB8AA3B
	v_log_f32_e32 v186, v146                                   // 000000009484: 7F744392
	v_mul_f32_e64 v187, v138, s46                              // 000000009488: D10500BB 00005D8A
	v_add_f32_e32 v136, v186, v187                             // 000000009490: 031177BA
	v_mul_f32_e32 v136, v136, v189                             // 000000009494: 0B117B88
	buffer_store_dword v136, v210, s[32:35], 0 offen           // 000000009498: E0701000 800888D2
	v_log_f32_e32 v186, v147                                   // 0000000094A0: 7F744393
	v_mul_f32_e64 v187, v139, s46                              // 0000000094A4: D10500BB 00005D8B
	v_add_f32_e32 v137, v186, v187                             // 0000000094AC: 031377BA
	v_mul_f32_e32 v137, v137, v189                             // 0000000094B0: 0B137B89
	buffer_store_dword v137, v211, s[32:35], 0 offen           // 0000000094B4: E0701000 800889D3
	v_add_u32_e32 v186, 0, v212                                // 0000000094BC: 6975A880
	buffer_store_dwordx4 v[108:111], v186, s[28:31], 0 offen   // 0000000094C0: E07C1000 80076CBA
	v_add_u32_e32 v186, 0x100, v212                            // 0000000094C8: 6975A8FF 00000100
	buffer_store_dwordx4 v[112:115], v186, s[28:31], 0 offen   // 0000000094D0: E07C1000 800770BA
	v_add_u32_e32 v186, 0, v213                                // 0000000094D8: 6975AA80
	buffer_store_dwordx4 v[116:119], v186, s[28:31], 0 offen   // 0000000094DC: E07C1000 800774BA
	v_add_u32_e32 v186, 0x100, v213                            // 0000000094E4: 6975AAFF 00000100
	buffer_store_dwordx4 v[120:123], v186, s[28:31], 0 offen   // 0000000094EC: E07C1000 800778BA

00000000000094f4 <label_1BBD>:
	s_addk_i32 s80, 0x1                                        // 0000000094F4: B7500001
	s_branch label_01A1                                        // 0000000094F8: BF82E5E2

00000000000094fc <label_1BBF>:
	s_waitcnt vmcnt(0) expcnt(0) lgkmcnt(0)                    // 0000000094FC: BF8C0000
	s_endpgm                                                   // 000000009500: BF810000
